;; amdgpu-corpus repo=ROCm/rocFFT kind=compiled arch=gfx1100 opt=O3
	.text
	.amdgcn_target "amdgcn-amd-amdhsa--gfx1100"
	.amdhsa_code_object_version 6
	.protected	fft_rtc_back_len546_factors_13_3_7_2_wgs_117_tpt_39_halfLds_dp_op_CI_CI_unitstride_sbrr_R2C_dirReg ; -- Begin function fft_rtc_back_len546_factors_13_3_7_2_wgs_117_tpt_39_halfLds_dp_op_CI_CI_unitstride_sbrr_R2C_dirReg
	.globl	fft_rtc_back_len546_factors_13_3_7_2_wgs_117_tpt_39_halfLds_dp_op_CI_CI_unitstride_sbrr_R2C_dirReg
	.p2align	8
	.type	fft_rtc_back_len546_factors_13_3_7_2_wgs_117_tpt_39_halfLds_dp_op_CI_CI_unitstride_sbrr_R2C_dirReg,@function
fft_rtc_back_len546_factors_13_3_7_2_wgs_117_tpt_39_halfLds_dp_op_CI_CI_unitstride_sbrr_R2C_dirReg: ; @fft_rtc_back_len546_factors_13_3_7_2_wgs_117_tpt_39_halfLds_dp_op_CI_CI_unitstride_sbrr_R2C_dirReg
; %bb.0:
	s_load_b128 s[8:11], s[0:1], 0x0
	v_mul_u32_u24_e32 v1, 0x691, v0
	s_clause 0x1
	s_load_b128 s[4:7], s[0:1], 0x58
	s_load_b128 s[16:19], s[0:1], 0x18
	v_mov_b32_e32 v5, 0
	v_lshrrev_b32_e32 v6, 16, v1
	v_mov_b32_e32 v1, 0
	v_mov_b32_e32 v2, 0
	s_delay_alu instid0(VALU_DEP_3) | instskip(NEXT) | instid1(VALU_DEP_2)
	v_mad_u64_u32 v[3:4], null, s15, 3, v[6:7]
	v_dual_mov_b32 v4, v5 :: v_dual_mov_b32 v61, v2
	s_delay_alu instid0(VALU_DEP_1) | instskip(NEXT) | instid1(VALU_DEP_3)
	v_dual_mov_b32 v60, v1 :: v_dual_mov_b32 v65, v4
	v_mov_b32_e32 v64, v3
	s_waitcnt lgkmcnt(0)
	v_cmp_lt_u64_e64 s2, s[10:11], 2
	s_delay_alu instid0(VALU_DEP_1)
	s_and_b32 vcc_lo, exec_lo, s2
	s_cbranch_vccnz .LBB0_8
; %bb.1:
	s_load_b64 s[2:3], s[0:1], 0x10
	v_dual_mov_b32 v1, 0 :: v_dual_mov_b32 v8, v4
	v_dual_mov_b32 v2, 0 :: v_dual_mov_b32 v7, v3
	s_add_u32 s12, s18, 8
	s_addc_u32 s13, s19, 0
	s_add_u32 s14, s16, 8
	s_delay_alu instid0(VALU_DEP_1)
	v_dual_mov_b32 v61, v2 :: v_dual_mov_b32 v60, v1
	s_addc_u32 s15, s17, 0
	s_mov_b64 s[22:23], 1
	s_waitcnt lgkmcnt(0)
	s_add_u32 s20, s2, 8
	s_addc_u32 s21, s3, 0
.LBB0_2:                                ; =>This Inner Loop Header: Depth=1
	s_load_b64 s[24:25], s[20:21], 0x0
                                        ; implicit-def: $vgpr64_vgpr65
	s_mov_b32 s2, exec_lo
	s_waitcnt lgkmcnt(0)
	v_or_b32_e32 v6, s25, v8
	s_delay_alu instid0(VALU_DEP_1)
	v_cmpx_ne_u64_e32 0, v[5:6]
	s_xor_b32 s3, exec_lo, s2
	s_cbranch_execz .LBB0_4
; %bb.3:                                ;   in Loop: Header=BB0_2 Depth=1
	v_cvt_f32_u32_e32 v4, s24
	v_cvt_f32_u32_e32 v6, s25
	s_sub_u32 s2, 0, s24
	s_subb_u32 s26, 0, s25
	s_delay_alu instid0(VALU_DEP_1) | instskip(NEXT) | instid1(VALU_DEP_1)
	v_fmac_f32_e32 v4, 0x4f800000, v6
	v_rcp_f32_e32 v4, v4
	s_waitcnt_depctr 0xfff
	v_mul_f32_e32 v4, 0x5f7ffffc, v4
	s_delay_alu instid0(VALU_DEP_1) | instskip(NEXT) | instid1(VALU_DEP_1)
	v_mul_f32_e32 v6, 0x2f800000, v4
	v_trunc_f32_e32 v6, v6
	s_delay_alu instid0(VALU_DEP_1) | instskip(SKIP_1) | instid1(VALU_DEP_2)
	v_fmac_f32_e32 v4, 0xcf800000, v6
	v_cvt_u32_f32_e32 v6, v6
	v_cvt_u32_f32_e32 v4, v4
	s_delay_alu instid0(VALU_DEP_2) | instskip(NEXT) | instid1(VALU_DEP_2)
	v_mul_lo_u32 v9, s2, v6
	v_mul_hi_u32 v10, s2, v4
	v_mul_lo_u32 v11, s26, v4
	s_delay_alu instid0(VALU_DEP_2) | instskip(SKIP_1) | instid1(VALU_DEP_2)
	v_add_nc_u32_e32 v9, v10, v9
	v_mul_lo_u32 v10, s2, v4
	v_add_nc_u32_e32 v9, v9, v11
	s_delay_alu instid0(VALU_DEP_2) | instskip(NEXT) | instid1(VALU_DEP_2)
	v_mul_hi_u32 v11, v4, v10
	v_mul_lo_u32 v12, v4, v9
	v_mul_hi_u32 v13, v4, v9
	v_mul_hi_u32 v14, v6, v10
	v_mul_lo_u32 v10, v6, v10
	v_mul_hi_u32 v15, v6, v9
	v_mul_lo_u32 v9, v6, v9
	v_add_co_u32 v11, vcc_lo, v11, v12
	v_add_co_ci_u32_e32 v12, vcc_lo, 0, v13, vcc_lo
	s_delay_alu instid0(VALU_DEP_2) | instskip(NEXT) | instid1(VALU_DEP_2)
	v_add_co_u32 v10, vcc_lo, v11, v10
	v_add_co_ci_u32_e32 v10, vcc_lo, v12, v14, vcc_lo
	v_add_co_ci_u32_e32 v11, vcc_lo, 0, v15, vcc_lo
	s_delay_alu instid0(VALU_DEP_2) | instskip(NEXT) | instid1(VALU_DEP_2)
	v_add_co_u32 v9, vcc_lo, v10, v9
	v_add_co_ci_u32_e32 v10, vcc_lo, 0, v11, vcc_lo
	s_delay_alu instid0(VALU_DEP_2) | instskip(NEXT) | instid1(VALU_DEP_2)
	v_add_co_u32 v4, vcc_lo, v4, v9
	v_add_co_ci_u32_e32 v6, vcc_lo, v6, v10, vcc_lo
	s_delay_alu instid0(VALU_DEP_2) | instskip(SKIP_1) | instid1(VALU_DEP_3)
	v_mul_hi_u32 v9, s2, v4
	v_mul_lo_u32 v11, s26, v4
	v_mul_lo_u32 v10, s2, v6
	s_delay_alu instid0(VALU_DEP_1) | instskip(SKIP_1) | instid1(VALU_DEP_2)
	v_add_nc_u32_e32 v9, v9, v10
	v_mul_lo_u32 v10, s2, v4
	v_add_nc_u32_e32 v9, v9, v11
	s_delay_alu instid0(VALU_DEP_2) | instskip(NEXT) | instid1(VALU_DEP_2)
	v_mul_hi_u32 v11, v4, v10
	v_mul_lo_u32 v12, v4, v9
	v_mul_hi_u32 v13, v4, v9
	v_mul_hi_u32 v14, v6, v10
	v_mul_lo_u32 v10, v6, v10
	v_mul_hi_u32 v15, v6, v9
	v_mul_lo_u32 v9, v6, v9
	v_add_co_u32 v11, vcc_lo, v11, v12
	v_add_co_ci_u32_e32 v12, vcc_lo, 0, v13, vcc_lo
	s_delay_alu instid0(VALU_DEP_2) | instskip(NEXT) | instid1(VALU_DEP_2)
	v_add_co_u32 v10, vcc_lo, v11, v10
	v_add_co_ci_u32_e32 v10, vcc_lo, v12, v14, vcc_lo
	v_add_co_ci_u32_e32 v11, vcc_lo, 0, v15, vcc_lo
	s_delay_alu instid0(VALU_DEP_2) | instskip(NEXT) | instid1(VALU_DEP_2)
	v_add_co_u32 v9, vcc_lo, v10, v9
	v_add_co_ci_u32_e32 v10, vcc_lo, 0, v11, vcc_lo
	s_delay_alu instid0(VALU_DEP_2) | instskip(NEXT) | instid1(VALU_DEP_2)
	v_add_co_u32 v4, vcc_lo, v4, v9
	v_add_co_ci_u32_e32 v6, vcc_lo, v6, v10, vcc_lo
	s_delay_alu instid0(VALU_DEP_2) | instskip(SKIP_1) | instid1(VALU_DEP_3)
	v_mul_hi_u32 v15, v7, v4
	v_mad_u64_u32 v[11:12], null, v8, v4, 0
	v_mad_u64_u32 v[9:10], null, v7, v6, 0
	;; [unrolled: 1-line block ×3, first 2 shown]
	s_delay_alu instid0(VALU_DEP_2) | instskip(NEXT) | instid1(VALU_DEP_3)
	v_add_co_u32 v4, vcc_lo, v15, v9
	v_add_co_ci_u32_e32 v6, vcc_lo, 0, v10, vcc_lo
	s_delay_alu instid0(VALU_DEP_2) | instskip(NEXT) | instid1(VALU_DEP_2)
	v_add_co_u32 v4, vcc_lo, v4, v11
	v_add_co_ci_u32_e32 v4, vcc_lo, v6, v12, vcc_lo
	v_add_co_ci_u32_e32 v6, vcc_lo, 0, v14, vcc_lo
	s_delay_alu instid0(VALU_DEP_2) | instskip(NEXT) | instid1(VALU_DEP_2)
	v_add_co_u32 v4, vcc_lo, v4, v13
	v_add_co_ci_u32_e32 v6, vcc_lo, 0, v6, vcc_lo
	s_delay_alu instid0(VALU_DEP_2) | instskip(SKIP_1) | instid1(VALU_DEP_3)
	v_mul_lo_u32 v11, s25, v4
	v_mad_u64_u32 v[9:10], null, s24, v4, 0
	v_mul_lo_u32 v12, s24, v6
	s_delay_alu instid0(VALU_DEP_2) | instskip(NEXT) | instid1(VALU_DEP_2)
	v_sub_co_u32 v9, vcc_lo, v7, v9
	v_add3_u32 v10, v10, v12, v11
	s_delay_alu instid0(VALU_DEP_1) | instskip(NEXT) | instid1(VALU_DEP_1)
	v_sub_nc_u32_e32 v11, v8, v10
	v_subrev_co_ci_u32_e64 v11, s2, s25, v11, vcc_lo
	v_add_co_u32 v12, s2, v4, 2
	s_delay_alu instid0(VALU_DEP_1) | instskip(SKIP_3) | instid1(VALU_DEP_3)
	v_add_co_ci_u32_e64 v13, s2, 0, v6, s2
	v_sub_co_u32 v14, s2, v9, s24
	v_sub_co_ci_u32_e32 v10, vcc_lo, v8, v10, vcc_lo
	v_subrev_co_ci_u32_e64 v11, s2, 0, v11, s2
	v_cmp_le_u32_e32 vcc_lo, s24, v14
	s_delay_alu instid0(VALU_DEP_3) | instskip(SKIP_1) | instid1(VALU_DEP_4)
	v_cmp_eq_u32_e64 s2, s25, v10
	v_cndmask_b32_e64 v14, 0, -1, vcc_lo
	v_cmp_le_u32_e32 vcc_lo, s25, v11
	v_cndmask_b32_e64 v15, 0, -1, vcc_lo
	v_cmp_le_u32_e32 vcc_lo, s24, v9
	;; [unrolled: 2-line block ×3, first 2 shown]
	v_cndmask_b32_e64 v16, 0, -1, vcc_lo
	v_cmp_eq_u32_e32 vcc_lo, s25, v11
	s_delay_alu instid0(VALU_DEP_2) | instskip(SKIP_3) | instid1(VALU_DEP_3)
	v_cndmask_b32_e64 v9, v16, v9, s2
	v_cndmask_b32_e32 v11, v15, v14, vcc_lo
	v_add_co_u32 v14, vcc_lo, v4, 1
	v_add_co_ci_u32_e32 v15, vcc_lo, 0, v6, vcc_lo
	v_cmp_ne_u32_e32 vcc_lo, 0, v11
	s_delay_alu instid0(VALU_DEP_2) | instskip(SKIP_1) | instid1(VALU_DEP_2)
	v_dual_cndmask_b32 v10, v15, v13 :: v_dual_cndmask_b32 v11, v14, v12
	v_cmp_ne_u32_e32 vcc_lo, 0, v9
	v_dual_cndmask_b32 v65, v6, v10 :: v_dual_cndmask_b32 v64, v4, v11
.LBB0_4:                                ;   in Loop: Header=BB0_2 Depth=1
	s_and_not1_saveexec_b32 s2, s3
	s_cbranch_execz .LBB0_6
; %bb.5:                                ;   in Loop: Header=BB0_2 Depth=1
	v_cvt_f32_u32_e32 v4, s24
	s_sub_i32 s3, 0, s24
	v_mov_b32_e32 v65, v5
	s_delay_alu instid0(VALU_DEP_2) | instskip(SKIP_2) | instid1(VALU_DEP_1)
	v_rcp_iflag_f32_e32 v4, v4
	s_waitcnt_depctr 0xfff
	v_mul_f32_e32 v4, 0x4f7ffffe, v4
	v_cvt_u32_f32_e32 v4, v4
	s_delay_alu instid0(VALU_DEP_1) | instskip(NEXT) | instid1(VALU_DEP_1)
	v_mul_lo_u32 v6, s3, v4
	v_mul_hi_u32 v6, v4, v6
	s_delay_alu instid0(VALU_DEP_1) | instskip(NEXT) | instid1(VALU_DEP_1)
	v_add_nc_u32_e32 v4, v4, v6
	v_mul_hi_u32 v4, v7, v4
	s_delay_alu instid0(VALU_DEP_1) | instskip(NEXT) | instid1(VALU_DEP_1)
	v_mul_lo_u32 v6, v4, s24
	v_sub_nc_u32_e32 v6, v7, v6
	s_delay_alu instid0(VALU_DEP_1) | instskip(SKIP_1) | instid1(VALU_DEP_2)
	v_subrev_nc_u32_e32 v10, s24, v6
	v_cmp_le_u32_e32 vcc_lo, s24, v6
	v_dual_cndmask_b32 v6, v6, v10 :: v_dual_add_nc_u32 v9, 1, v4
	s_delay_alu instid0(VALU_DEP_1) | instskip(NEXT) | instid1(VALU_DEP_2)
	v_cndmask_b32_e32 v4, v4, v9, vcc_lo
	v_cmp_le_u32_e32 vcc_lo, s24, v6
	s_delay_alu instid0(VALU_DEP_2) | instskip(NEXT) | instid1(VALU_DEP_1)
	v_add_nc_u32_e32 v9, 1, v4
	v_cndmask_b32_e32 v64, v4, v9, vcc_lo
.LBB0_6:                                ;   in Loop: Header=BB0_2 Depth=1
	s_or_b32 exec_lo, exec_lo, s2
	s_delay_alu instid0(VALU_DEP_1) | instskip(NEXT) | instid1(VALU_DEP_2)
	v_mul_lo_u32 v4, v65, s24
	v_mul_lo_u32 v6, v64, s25
	s_load_b64 s[2:3], s[14:15], 0x0
	v_mad_u64_u32 v[9:10], null, v64, s24, 0
	s_load_b64 s[24:25], s[12:13], 0x0
	s_add_u32 s22, s22, 1
	s_addc_u32 s23, s23, 0
	s_add_u32 s12, s12, 8
	s_addc_u32 s13, s13, 0
	s_add_u32 s14, s14, 8
	s_delay_alu instid0(VALU_DEP_1) | instskip(SKIP_3) | instid1(VALU_DEP_2)
	v_add3_u32 v4, v10, v6, v4
	v_sub_co_u32 v10, vcc_lo, v7, v9
	s_addc_u32 s15, s15, 0
	s_add_u32 s20, s20, 8
	v_sub_co_ci_u32_e32 v4, vcc_lo, v8, v4, vcc_lo
	s_addc_u32 s21, s21, 0
	s_waitcnt lgkmcnt(0)
	s_delay_alu instid0(VALU_DEP_1)
	v_mul_lo_u32 v11, s2, v4
	v_mul_lo_u32 v12, s3, v10
	v_mad_u64_u32 v[6:7], null, s2, v10, v[1:2]
	v_mul_lo_u32 v4, s24, v4
	v_mul_lo_u32 v13, s25, v10
	v_mad_u64_u32 v[8:9], null, s24, v10, v[60:61]
	v_cmp_ge_u64_e64 s2, s[22:23], s[10:11]
	v_add3_u32 v2, v12, v7, v11
	s_delay_alu instid0(VALU_DEP_3) | instskip(NEXT) | instid1(VALU_DEP_4)
	v_dual_mov_b32 v1, v6 :: v_dual_mov_b32 v60, v8
	v_add3_u32 v61, v13, v9, v4
	s_delay_alu instid0(VALU_DEP_4)
	s_and_b32 vcc_lo, exec_lo, s2
	s_cbranch_vccnz .LBB0_8
; %bb.7:                                ;   in Loop: Header=BB0_2 Depth=1
	v_dual_mov_b32 v7, v64 :: v_dual_mov_b32 v8, v65
	s_branch .LBB0_2
.LBB0_8:
	s_load_b64 s[0:1], s[0:1], 0x28
	v_mul_hi_u32 v4, 0xaaaaaaab, v3
	s_lshl_b64 s[10:11], s[10:11], 3
                                        ; implicit-def: $vgpr62
	s_delay_alu instid0(SALU_CYCLE_1) | instskip(SKIP_1) | instid1(VALU_DEP_1)
	s_add_u32 s2, s18, s10
	s_addc_u32 s3, s19, s11
	v_lshrrev_b32_e32 v4, 1, v4
	s_delay_alu instid0(VALU_DEP_1) | instskip(SKIP_1) | instid1(VALU_DEP_2)
	v_lshl_add_u32 v5, v4, 1, v4
	v_mul_hi_u32 v4, 0x6906907, v0
	v_sub_nc_u32_e32 v3, v3, v5
	s_waitcnt lgkmcnt(0)
	v_cmp_gt_u64_e32 vcc_lo, s[0:1], v[64:65]
	v_cmp_le_u64_e64 s0, s[0:1], v[64:65]
                                        ; implicit-def: $vgpr5
	scratch_store_b64 off, v[5:6], off      ; 8-byte Folded Spill
	s_and_saveexec_b32 s1, s0
	s_delay_alu instid0(SALU_CYCLE_1)
	s_xor_b32 s0, exec_lo, s1
	s_cbranch_execz .LBB0_10
; %bb.9:
	v_mul_u32_u24_e32 v1, 39, v4
                                        ; implicit-def: $vgpr4
	s_delay_alu instid0(VALU_DEP_1) | instskip(NEXT) | instid1(VALU_DEP_1)
	v_sub_nc_u32_e32 v62, v0, v1
	v_add_nc_u32_e32 v0, 39, v62
	scratch_store_b64 off, v[0:1], off      ; 8-byte Folded Spill
                                        ; implicit-def: $vgpr0
                                        ; implicit-def: $vgpr1_vgpr2
.LBB0_10:
	s_or_saveexec_b32 s1, s0
	v_mul_u32_u24_e32 v254, 0x223, v3
	s_delay_alu instid0(VALU_DEP_1)
	v_lshlrev_b32_e32 v253, 4, v254
	s_xor_b32 exec_lo, exec_lo, s1
	s_cbranch_execz .LBB0_12
; %bb.11:
	s_add_u32 s10, s16, s10
	s_addc_u32 s11, s17, s11
	v_lshlrev_b64 v[1:2], 4, v[1:2]
	s_load_b64 s[10:11], s[10:11], 0x0
	s_waitcnt lgkmcnt(0)
	v_mul_lo_u32 v3, s11, v64
	v_mul_lo_u32 v7, s10, v65
	v_mad_u64_u32 v[5:6], null, s10, v64, 0
	s_delay_alu instid0(VALU_DEP_1) | instskip(SKIP_1) | instid1(VALU_DEP_2)
	v_add3_u32 v6, v6, v7, v3
	v_mul_u32_u24_e32 v7, 39, v4
	v_lshlrev_b64 v[3:4], 4, v[5:6]
	s_delay_alu instid0(VALU_DEP_2) | instskip(NEXT) | instid1(VALU_DEP_1)
	v_sub_nc_u32_e32 v62, v0, v7
	v_lshlrev_b32_e32 v56, 4, v62
	s_delay_alu instid0(VALU_DEP_3) | instskip(NEXT) | instid1(VALU_DEP_1)
	v_add_co_u32 v0, s0, s4, v3
	v_add_co_ci_u32_e64 v3, s0, s5, v4, s0
	v_add_nc_u32_e32 v57, 39, v62
	s_delay_alu instid0(VALU_DEP_3) | instskip(NEXT) | instid1(VALU_DEP_1)
	v_add_co_u32 v0, s0, v0, v1
	v_add_co_ci_u32_e64 v1, s0, v3, v2, s0
	s_delay_alu instid0(VALU_DEP_2) | instskip(NEXT) | instid1(VALU_DEP_1)
	v_add_co_u32 v24, s0, v0, v56
	v_add_co_ci_u32_e64 v25, s0, 0, v1, s0
	s_clause 0x1
	global_load_b128 v[0:3], v[24:25], off
	global_load_b128 v[4:7], v[24:25], off offset:624
	v_add_co_u32 v52, s0, 0x1000, v24
	s_delay_alu instid0(VALU_DEP_1)
	v_add_co_ci_u32_e64 v53, s0, 0, v25, s0
	s_clause 0xb
	global_load_b128 v[8:11], v[24:25], off offset:1248
	global_load_b128 v[12:15], v[24:25], off offset:1872
	;; [unrolled: 1-line block ×12, first 2 shown]
	v_add3_u32 v56, 0, v253, v56
	scratch_store_b64 off, v[57:58], off    ; 8-byte Folded Spill
	s_waitcnt vmcnt(13)
	ds_store_b128 v56, v[0:3]
	s_waitcnt vmcnt(12)
	ds_store_b128 v56, v[4:7] offset:624
	s_waitcnt vmcnt(11)
	ds_store_b128 v56, v[8:11] offset:1248
	;; [unrolled: 2-line block ×13, first 2 shown]
.LBB0_12:
	s_or_b32 exec_lo, exec_lo, s1
	v_lshlrev_b32_e32 v119, 4, v62
	v_add_nc_u32_e32 v120, 0, v253
	s_load_b64 s[2:3], s[2:3], 0x0
	s_waitcnt lgkmcnt(0)
	s_waitcnt_vscnt null, 0x0
	s_barrier
	v_add_nc_u32_e32 v255, 0, v119
	v_add_nc_u32_e32 v124, v120, v119
	buffer_gl0_inv
	s_mov_b32 s0, 0x4267c47c
	s_mov_b32 s26, 0x42a4c3d2
	v_add_nc_u32_e32 v123, v255, v253
	s_mov_b32 s28, 0x66966769
	s_mov_b32 s36, 0x2ef20147
	;; [unrolled: 1-line block ×4, first 2 shown]
	ds_load_b128 v[8:11], v123 offset:672
	ds_load_b128 v[4:7], v124
	ds_load_b128 v[0:3], v123 offset:624
	ds_load_b128 v[12:15], v123 offset:1296
	;; [unrolled: 1-line block ×15, first 2 shown]
	s_mov_b32 s16, 0xebaa3ed8
	s_mov_b32 s10, 0xd0032e0c
	;; [unrolled: 1-line block ×9, first 2 shown]
	s_waitcnt lgkmcnt(15)
	v_add_f64 v[16:17], v[4:5], v[8:9]
	v_add_f64 v[18:19], v[6:7], v[10:11]
	s_waitcnt lgkmcnt(13)
	v_add_f64 v[20:21], v[0:1], v[12:13]
	v_add_f64 v[22:23], v[2:3], v[14:15]
	s_mov_b32 s11, 0xbfe7f3cc
	s_mov_b32 s4, 0xe00740e9
	;; [unrolled: 1-line block ×4, first 2 shown]
	s_waitcnt lgkmcnt(2)
	v_add_f64 v[103:104], v[67:68], v[75:76]
	v_add_f64 v[105:106], v[69:70], v[77:78]
	v_add_f64 v[107:108], v[69:70], -v[77:78]
	s_mov_b32 s20, 0x93053d00
	s_mov_b32 s5, 0x3fec55a7
	;; [unrolled: 1-line block ×17, first 2 shown]
	v_add_f64 v[16:17], v[16:17], v[24:25]
	v_add_f64 v[18:19], v[18:19], v[26:27]
	;; [unrolled: 1-line block ×4, first 2 shown]
	s_delay_alu instid0(VALU_DEP_4) | instskip(NEXT) | instid1(VALU_DEP_4)
	v_add_f64 v[16:17], v[16:17], v[28:29]
	v_add_f64 v[18:19], v[18:19], v[30:31]
	s_delay_alu instid0(VALU_DEP_4) | instskip(NEXT) | instid1(VALU_DEP_4)
	v_add_f64 v[20:21], v[20:21], v[42:43]
	v_add_f64 v[22:23], v[22:23], v[44:45]
	;; [unrolled: 3-line block ×7, first 2 shown]
	ds_load_b128 v[16:19], v123 offset:8064
	v_add_f64 v[79:80], v[20:21], v[71:72]
	v_add_f64 v[81:82], v[22:23], v[73:74]
	ds_load_b128 v[99:102], v123 offset:6000
	ds_load_b128 v[113:116], v123 offset:6048
	;; [unrolled: 1-line block ×8, first 2 shown]
	s_waitcnt lgkmcnt(9)
	v_add_f64 v[91:92], v[36:37], v[83:84]
	v_add_f64 v[87:88], v[38:39], v[85:86]
	v_add_f64 v[93:94], v[36:37], -v[83:84]
	v_add_f64 v[89:90], v[38:39], -v[85:86]
	s_waitcnt lgkmcnt(0)
	s_barrier
	buffer_gl0_inv
	v_add_f64 v[111:112], v[32:33], v[113:114]
	v_add_f64 v[109:110], v[32:33], -v[113:114]
	v_add_f64 v[161:162], v[24:25], v[137:138]
	v_add_f64 v[165:166], v[24:25], -v[137:138]
	;; [unrolled: 2-line block ×3, first 2 shown]
	v_add_f64 v[149:150], v[10:11], -v[18:19]
	v_add_f64 v[151:152], v[10:11], v[18:19]
	v_add_f64 v[163:164], v[26:27], v[139:140]
	v_add_f64 v[167:168], v[26:27], -v[139:140]
	v_add_f64 v[26:27], v[73:74], v[97:98]
	v_add_f64 v[10:11], v[67:68], -v[75:76]
	;; [unrolled: 2-line block ×3, first 2 shown]
	v_add_f64 v[159:160], v[30:31], -v[131:132]
	v_add_f64 v[169:170], v[8:9], v[16:17]
	v_add_f64 v[40:41], v[40:41], v[75:76]
	;; [unrolled: 1-line block ×3, first 2 shown]
	v_add_f64 v[8:9], v[8:9], -v[16:17]
	v_add_f64 v[145:146], v[79:80], v[95:96]
	v_add_f64 v[147:148], v[81:82], v[97:98]
	;; [unrolled: 1-line block ×3, first 2 shown]
	v_add_f64 v[81:82], v[34:35], -v[115:116]
	v_add_f64 v[34:35], v[73:74], -v[97:98]
	v_add_f64 v[28:29], v[46:47], v[99:100]
	v_add_f64 v[54:55], v[46:47], -v[99:100]
	v_add_f64 v[46:47], v[44:45], v[135:136]
	v_add_f64 v[67:68], v[42:43], -v[133:134]
	v_add_f64 v[69:70], v[44:45], -v[135:136]
	v_add_f64 v[44:45], v[52:53], v[143:144]
	v_add_f64 v[73:74], v[50:51], -v[141:142]
	;; [unrolled: 3-line block ×3, first 2 shown]
	v_add_f64 v[75:76], v[14:15], -v[22:23]
	v_add_f64 v[155:156], v[30:31], v[131:132]
	v_add_f64 v[30:31], v[48:49], v[101:102]
	v_add_f64 v[48:49], v[48:49], -v[101:102]
	v_add_f64 v[36:37], v[56:57], v[125:126]
	v_add_f64 v[38:39], v[58:59], v[127:128]
	v_add_f64 v[56:57], v[56:57], -v[125:126]
	v_add_f64 v[58:59], v[58:59], -v[127:128]
	v_mul_f64 v[173:174], v[149:150], s[36:37]
	v_mul_f64 v[171:172], v[151:152], s[16:17]
	;; [unrolled: 1-line block ×10, first 2 shown]
	v_add_f64 v[83:84], v[40:41], v[83:84]
	v_add_f64 v[85:86], v[117:118], v[85:86]
	;; [unrolled: 1-line block ×5, first 2 shown]
	v_mul_f64 v[99:100], v[149:150], s[0:1]
	v_mul_f64 v[117:118], v[149:150], s[26:27]
	v_add_f64 v[42:43], v[50:51], v[141:142]
	v_mul_f64 v[147:148], v[149:150], s[28:29]
	v_add_f64 v[50:51], v[12:13], v[20:21]
	v_mul_f64 v[12:13], v[151:152], s[10:11]
	v_mul_f64 v[101:102], v[151:152], s[4:5]
	;; [unrolled: 1-line block ×12, first 2 shown]
	v_fma_f64 v[207:208], v[169:170], s[14:15], v[173:174]
	v_fma_f64 v[205:206], v[8:9], s[30:31], v[171:172]
	;; [unrolled: 1-line block ×3, first 2 shown]
	v_fma_f64 v[173:174], v[169:170], s[14:15], -v[173:174]
	v_fma_f64 v[211:212], v[169:170], s[10:11], v[177:178]
	v_fma_f64 v[177:178], v[169:170], s[10:11], -v[177:178]
	v_fma_f64 v[215:216], v[169:170], s[20:21], v[14:15]
	;; [unrolled: 2-line block ×3, first 2 shown]
	v_fma_f64 v[175:176], v[8:9], s[36:37], v[175:176]
	v_add_f64 v[83:84], v[83:84], v[113:114]
	v_add_f64 v[85:86], v[85:86], v[115:116]
	v_mul_f64 v[113:114], v[167:168], s[40:41]
	v_add_f64 v[95:96], v[95:96], v[125:126]
	v_add_f64 v[97:98], v[97:98], v[127:128]
	v_mul_f64 v[115:116], v[163:164], s[20:21]
	v_fma_f64 v[195:196], v[169:170], s[4:5], v[99:100]
	v_fma_f64 v[99:100], v[169:170], s[4:5], -v[99:100]
	v_fma_f64 v[199:200], v[169:170], s[12:13], v[117:118]
	v_fma_f64 v[117:118], v[169:170], s[12:13], -v[117:118]
	;; [unrolled: 2-line block ×3, first 2 shown]
	v_fma_f64 v[213:214], v[8:9], s[34:35], v[12:13]
	v_mul_f64 v[125:126], v[163:164], s[10:11]
	v_mul_f64 v[127:128], v[167:168], s[30:31]
	v_fma_f64 v[197:198], v[8:9], s[22:23], v[101:102]
	v_fma_f64 v[101:102], v[8:9], s[0:1], v[101:102]
	;; [unrolled: 1-line block ×6, first 2 shown]
	v_mul_f64 v[167:168], v[167:168], s[22:23]
	v_fma_f64 v[8:9], v[8:9], s[40:41], v[149:150]
	v_mul_f64 v[149:150], v[163:164], s[4:5]
	v_fma_f64 v[163:164], v[161:162], s[12:13], v[151:152]
	v_fma_f64 v[219:220], v[153:154], s[16:17], v[181:182]
	v_fma_f64 v[181:182], v[153:154], s[16:17], -v[181:182]
	v_fma_f64 v[221:222], v[153:154], s[20:21], v[187:188]
	v_add_f64 v[207:208], v[4:5], v[207:208]
	v_add_f64 v[205:206], v[6:7], v[205:206]
	;; [unrolled: 1-line block ×7, first 2 shown]
	v_fma_f64 v[187:188], v[153:154], s[20:21], -v[187:188]
	v_add_f64 v[209:210], v[6:7], v[209:210]
	v_add_f64 v[175:176], v[6:7], v[175:176]
	;; [unrolled: 1-line block ×4, first 2 shown]
	v_fma_f64 v[129:130], v[165:166], s[24:25], v[179:180]
	v_add_f64 v[95:96], v[95:96], v[133:134]
	v_add_f64 v[97:98], v[97:98], v[135:136]
	v_fma_f64 v[131:132], v[161:162], s[12:13], -v[151:152]
	v_fma_f64 v[151:152], v[165:166], s[26:27], v[179:180]
	v_fma_f64 v[179:180], v[161:162], s[14:15], v[183:184]
	;; [unrolled: 1-line block ×3, first 2 shown]
	v_fma_f64 v[135:136], v[161:162], s[14:15], -v[183:184]
	v_fma_f64 v[183:184], v[165:166], s[36:37], v[185:186]
	v_fma_f64 v[185:186], v[161:162], s[20:21], v[113:114]
	v_add_f64 v[195:196], v[4:5], v[195:196]
	v_add_f64 v[99:100], v[4:5], v[99:100]
	;; [unrolled: 1-line block ×8, first 2 shown]
	v_fma_f64 v[14:15], v[161:162], s[20:21], -v[113:114]
	v_fma_f64 v[113:114], v[165:166], s[40:41], v[115:116]
	v_add_f64 v[197:198], v[6:7], v[197:198]
	v_add_f64 v[101:102], v[6:7], v[101:102]
	;; [unrolled: 1-line block ×7, first 2 shown]
	v_fma_f64 v[8:9], v[165:166], s[38:39], v[115:116]
	v_fma_f64 v[115:116], v[161:162], s[10:11], v[191:192]
	;; [unrolled: 1-line block ×4, first 2 shown]
	v_fma_f64 v[189:190], v[153:154], s[14:15], -v[189:190]
	v_fma_f64 v[245:246], v[157:158], s[36:37], v[233:234]
	v_fma_f64 v[233:234], v[157:158], s[42:43], v[233:234]
	;; [unrolled: 1-line block ×4, first 2 shown]
	v_add_f64 v[137:138], v[83:84], v[137:138]
	v_add_f64 v[139:140], v[85:86], v[139:140]
	v_fma_f64 v[83:84], v[165:166], s[18:19], v[125:126]
	v_add_f64 v[141:142], v[95:96], v[141:142]
	v_mul_f64 v[95:96], v[159:160], s[22:23]
	v_add_f64 v[143:144], v[97:98], v[143:144]
	v_fma_f64 v[97:98], v[165:166], s[28:29], v[193:194]
	v_fma_f64 v[85:86], v[161:162], s[10:11], -v[191:192]
	v_fma_f64 v[191:192], v[161:162], s[16:17], v[127:128]
	v_fma_f64 v[127:128], v[161:162], s[16:17], -v[127:128]
	v_fma_f64 v[161:162], v[161:162], s[4:5], -v[167:168]
	v_fma_f64 v[167:168], v[165:166], s[0:1], v[149:150]
	v_fma_f64 v[125:126], v[165:166], s[34:35], v[125:126]
	;; [unrolled: 1-line block ×4, first 2 shown]
	v_mul_f64 v[165:166], v[159:160], s[26:27]
	v_mul_f64 v[159:160], v[159:160], s[18:19]
	v_fma_f64 v[249:250], v[157:158], s[24:25], v[237:238]
	v_fma_f64 v[237:238], v[157:158], s[26:27], v[237:238]
	v_add_f64 v[99:100], v[131:132], v[99:100]
	v_add_f64 v[14:15], v[14:15], v[147:148]
	;; [unrolled: 1-line block ×9, first 2 shown]
	v_mul_f64 v[179:180], v[79:80], s[10:11]
	v_add_f64 v[145:146], v[185:186], v[203:204]
	v_add_f64 v[8:9], v[8:9], v[205:206]
	v_mul_f64 v[183:184], v[79:80], s[4:5]
	v_mul_f64 v[185:186], v[89:90], s[18:19]
	;; [unrolled: 1-line block ×3, first 2 shown]
	v_add_f64 v[115:116], v[115:116], v[207:208]
	v_mul_f64 v[199:200], v[89:90], s[26:27]
	v_mul_f64 v[205:206], v[87:88], s[12:13]
	;; [unrolled: 1-line block ×3, first 2 shown]
	v_add_f64 v[16:17], v[137:138], v[16:17]
	v_add_f64 v[18:19], v[139:140], v[18:19]
	;; [unrolled: 1-line block ×3, first 2 shown]
	v_mul_f64 v[83:84], v[71:72], s[26:27]
	v_fma_f64 v[225:226], v[153:154], s[4:5], v[95:96]
	v_fma_f64 v[227:228], v[153:154], s[4:5], -v[95:96]
	v_mul_f64 v[95:96], v[155:156], s[16:17]
	v_add_f64 v[171:172], v[97:98], v[213:214]
	v_mul_f64 v[97:98], v[77:78], s[0:1]
	v_add_f64 v[151:152], v[85:86], v[173:174]
	v_mul_f64 v[85:86], v[73:74], s[26:27]
	v_add_f64 v[167:168], v[167:168], v[169:170]
	v_add_f64 v[4:5], v[161:162], v[4:5]
	v_add_f64 v[127:128], v[127:128], v[177:178]
	;; [unrolled: 1-line block ×3, first 2 shown]
	v_fma_f64 v[229:230], v[153:154], s[12:13], v[165:166]
	v_fma_f64 v[165:166], v[153:154], s[12:13], -v[165:166]
	v_fma_f64 v[231:232], v[153:154], s[10:11], v[159:160]
	v_fma_f64 v[153:154], v[153:154], s[10:11], -v[159:160]
	v_mul_f64 v[159:160], v[155:156], s[20:21]
	v_mul_f64 v[155:156], v[155:156], s[10:11]
	;; [unrolled: 1-line block ×3, first 2 shown]
	v_add_f64 v[99:100], v[181:182], v[99:100]
	v_mul_f64 v[181:182], v[81:82], s[22:23]
	v_add_f64 v[14:15], v[189:190], v[14:15]
	v_add_f64 v[12:13], v[193:194], v[12:13]
	;; [unrolled: 1-line block ×4, first 2 shown]
	v_fma_f64 v[189:190], v[109:110], s[18:19], v[179:180]
	v_fma_f64 v[179:180], v[109:110], s[34:35], v[179:180]
	v_add_f64 v[145:146], v[223:224], v[145:146]
	v_mul_f64 v[193:194], v[89:90], s[30:31]
	v_add_f64 v[8:9], v[245:246], v[8:9]
	v_fma_f64 v[203:204], v[109:110], s[0:1], v[183:184]
	v_add_f64 v[113:114], v[233:234], v[113:114]
	v_mul_f64 v[209:210], v[79:80], s[16:17]
	v_add_f64 v[125:126], v[125:126], v[175:176]
	v_add_f64 v[175:176], v[217:218], v[215:216]
	v_mul_f64 v[213:214], v[87:88], s[4:5]
	v_mul_f64 v[217:218], v[89:90], s[36:37]
	v_add_f64 v[147:148], v[247:248], v[147:148]
	v_fma_f64 v[161:162], v[42:43], s[12:13], v[83:84]
	v_add_f64 v[115:116], v[225:226], v[115:116]
	v_fma_f64 v[239:240], v[157:158], s[30:31], v[95:96]
	v_fma_f64 v[241:242], v[157:158], s[28:29], v[95:96]
	v_mul_f64 v[95:96], v[75:76], s[0:1]
	v_fma_f64 v[169:170], v[52:53], s[4:5], -v[97:98]
	v_fma_f64 v[149:150], v[44:45], s[12:13], -v[85:86]
	v_add_f64 v[151:152], v[227:228], v[151:152]
	v_add_f64 v[171:172], v[249:250], v[171:172]
	;; [unrolled: 1-line block ×4, first 2 shown]
	v_fma_f64 v[243:244], v[157:158], s[38:39], v[159:160]
	v_fma_f64 v[159:160], v[157:158], s[40:41], v[159:160]
	;; [unrolled: 1-line block ×4, first 2 shown]
	v_add_f64 v[157:158], v[163:164], v[195:196]
	v_add_f64 v[163:164], v[191:192], v[211:212]
	v_fma_f64 v[195:196], v[111:112], s[10:11], v[177:178]
	v_fma_f64 v[177:178], v[111:112], s[10:11], -v[177:178]
	v_fma_f64 v[201:202], v[111:112], s[4:5], v[181:182]
	v_add_f64 v[12:13], v[237:238], v[12:13]
	v_mul_f64 v[211:212], v[89:90], s[22:23]
	v_add_f64 v[8:9], v[203:204], v[8:9]
	v_mul_f64 v[203:204], v[79:80], s[12:13]
	v_add_f64 v[125:126], v[235:236], v[125:126]
	v_add_f64 v[175:176], v[231:232], v[175:176]
	;; [unrolled: 1-line block ×4, first 2 shown]
	v_fma_f64 v[173:174], v[50:51], s[4:5], v[95:96]
	v_add_f64 v[169:170], v[2:3], v[169:170]
	v_add_f64 v[133:134], v[243:244], v[133:134]
	;; [unrolled: 1-line block ×3, first 2 shown]
	v_mul_f64 v[159:160], v[87:88], s[10:11]
	v_add_f64 v[167:168], v[251:252], v[167:168]
	v_add_f64 v[157:158], v[219:220], v[157:158]
	;; [unrolled: 1-line block ×5, first 2 shown]
	v_fma_f64 v[177:178], v[93:94], s[28:29], v[197:198]
	v_fma_f64 v[195:196], v[91:92], s[16:17], v[193:194]
	v_add_f64 v[145:146], v[201:202], v[145:146]
	v_mul_f64 v[201:202], v[81:82], s[24:25]
	v_add_f64 v[6:7], v[155:156], v[6:7]
	v_mul_f64 v[219:220], v[87:88], s[14:15]
	v_mul_f64 v[155:156], v[105:106], s[20:21]
	v_fma_f64 v[153:154], v[109:110], s[26:27], v[203:204]
	v_add_f64 v[173:174], v[0:1], v[173:174]
	v_add_f64 v[149:150], v[149:150], v[169:170]
	v_mul_f64 v[169:170], v[79:80], s[14:15]
	v_add_f64 v[133:134], v[189:190], v[133:134]
	v_add_f64 v[135:136], v[179:180], v[135:136]
	v_fma_f64 v[179:180], v[93:94], s[30:31], v[197:198]
	v_fma_f64 v[189:190], v[91:92], s[16:17], -v[193:194]
	v_fma_f64 v[193:194], v[91:92], s[12:13], v[199:200]
	v_fma_f64 v[197:198], v[93:94], s[24:25], v[205:206]
	v_add_f64 v[131:132], v[195:196], v[131:132]
	v_mul_f64 v[195:196], v[87:88], s[20:21]
	v_fma_f64 v[215:216], v[111:112], s[12:13], v[201:202]
	v_mul_f64 v[87:88], v[48:49], s[18:19]
	v_add_f64 v[153:154], v[153:154], v[167:168]
	v_mul_f64 v[167:168], v[105:106], s[14:15]
	v_add_f64 v[161:162], v[161:162], v[173:174]
	v_mul_f64 v[173:174], v[81:82], s[36:37]
	v_fma_f64 v[187:188], v[109:110], s[42:43], v[169:170]
	v_fma_f64 v[169:170], v[109:110], s[36:37], v[169:170]
	v_add_f64 v[133:134], v[177:178], v[133:134]
	v_fma_f64 v[177:178], v[111:112], s[16:17], v[207:208]
	v_add_f64 v[179:180], v[179:180], v[135:136]
	v_add_f64 v[117:118], v[189:190], v[117:118]
	v_add_f64 v[145:146], v[193:194], v[145:146]
	v_fma_f64 v[189:190], v[109:110], s[30:31], v[209:210]
	v_add_f64 v[193:194], v[197:198], v[8:9]
	v_mul_f64 v[8:9], v[89:90], s[38:39]
	v_fma_f64 v[197:198], v[111:112], s[16:17], -v[207:208]
	v_fma_f64 v[207:208], v[109:110], s[28:29], v[209:210]
	v_mul_f64 v[89:90], v[54:55], s[18:19]
	v_add_f64 v[175:176], v[215:216], v[175:176]
	v_fma_f64 v[191:192], v[111:112], s[14:15], v[173:174]
	v_fma_f64 v[173:174], v[111:112], s[14:15], -v[173:174]
	v_add_f64 v[129:130], v[187:188], v[129:130]
	v_fma_f64 v[187:188], v[93:94], s[34:35], v[159:160]
	v_add_f64 v[169:170], v[169:170], v[101:102]
	v_fma_f64 v[159:160], v[93:94], s[18:19], v[159:160]
	v_mul_f64 v[101:102], v[67:68], s[28:29]
	v_add_f64 v[115:116], v[177:178], v[115:116]
	v_fma_f64 v[177:178], v[38:39], s[14:15], -v[121:122]
	v_add_f64 v[147:148], v[189:190], v[147:148]
	v_fma_f64 v[189:190], v[91:92], s[20:21], v[8:9]
	v_add_f64 v[151:152], v[197:198], v[151:152]
	v_fma_f64 v[197:198], v[93:94], s[40:41], v[195:196]
	v_fma_f64 v[8:9], v[91:92], s[20:21], -v[8:9]
	v_fma_f64 v[195:196], v[93:94], s[38:39], v[195:196]
	v_add_f64 v[125:126], v[207:208], v[125:126]
	v_mul_f64 v[207:208], v[107:108], s[36:37]
	v_add_f64 v[157:158], v[191:192], v[157:158]
	v_fma_f64 v[191:192], v[91:92], s[10:11], v[185:186]
	v_add_f64 v[173:174], v[173:174], v[99:100]
	v_mul_f64 v[99:100], v[69:70], s[28:29]
	v_add_f64 v[129:130], v[187:188], v[129:130]
	v_mul_f64 v[187:188], v[79:80], s[20:21]
	v_add_f64 v[159:160], v[159:160], v[169:170]
	v_fma_f64 v[169:170], v[111:112], s[4:5], -v[181:182]
	v_fma_f64 v[181:182], v[109:110], s[22:23], v[183:184]
	v_fma_f64 v[135:136], v[46:47], s[16:17], -v[101:102]
	v_fma_f64 v[185:186], v[91:92], s[10:11], -v[185:186]
	v_mad_u32_u24 v79, 0xd0, v62, v120
	v_add_f64 v[147:148], v[197:198], v[147:148]
	v_add_f64 v[151:152], v[8:9], v[151:152]
	;; [unrolled: 1-line block ×5, first 2 shown]
	v_mul_f64 v[191:192], v[81:82], s[38:39]
	v_mul_f64 v[80:81], v[58:59], s[36:37]
	v_fma_f64 v[183:184], v[40:41], s[16:17], v[99:100]
	v_fma_f64 v[165:166], v[109:110], s[40:41], v[187:188]
	;; [unrolled: 1-line block ×4, first 2 shown]
	v_add_f64 v[14:15], v[169:170], v[14:15]
	v_add_f64 v[113:114], v[181:182], v[113:114]
	v_fma_f64 v[181:182], v[91:92], s[12:13], -v[199:200]
	v_fma_f64 v[199:200], v[93:94], s[26:27], v[205:206]
	v_add_f64 v[135:136], v[135:136], v[149:150]
	v_add_f64 v[173:174], v[185:186], v[173:174]
	v_mul_f64 v[185:186], v[107:108], s[40:41]
	v_mul_f64 v[169:170], v[107:108], s[18:19]
	v_mul_f64 v[203:204], v[105:106], s[4:5]
	v_mul_f64 v[205:206], v[107:108], s[24:25]
	v_fma_f64 v[209:210], v[111:112], s[20:21], v[191:192]
	v_fma_f64 v[191:192], v[111:112], s[20:21], -v[191:192]
	v_fma_f64 v[111:112], v[111:112], s[12:13], -v[201:202]
	v_add_f64 v[161:162], v[183:184], v[161:162]
	v_fma_f64 v[149:150], v[36:37], s[14:15], v[80:81]
	v_mul_f64 v[201:202], v[107:108], s[22:23]
	v_add_f64 v[165:166], v[165:166], v[171:172]
	v_mul_f64 v[171:172], v[105:106], s[12:13]
	v_add_f64 v[12:13], v[187:188], v[12:13]
	v_fma_f64 v[187:188], v[93:94], s[0:1], v[213:214]
	v_add_f64 v[6:7], v[109:110], v[6:7]
	v_fma_f64 v[109:110], v[93:94], s[42:43], v[219:220]
	v_add_f64 v[14:15], v[181:182], v[14:15]
	v_add_f64 v[181:182], v[199:200], v[113:114]
	;; [unrolled: 1-line block ×3, first 2 shown]
	v_mul_f64 v[183:184], v[105:106], s[10:11]
	v_mul_f64 v[107:108], v[107:108], s[30:31]
	;; [unrolled: 1-line block ×3, first 2 shown]
	v_fma_f64 v[215:216], v[103:104], s[20:21], v[185:186]
	v_fma_f64 v[177:178], v[103:104], s[20:21], -v[185:186]
	v_add_f64 v[185:186], v[189:190], v[115:116]
	v_fma_f64 v[189:190], v[10:11], s[0:1], v[203:204]
	v_fma_f64 v[199:200], v[10:11], s[22:23], v[203:204]
	v_fma_f64 v[203:204], v[103:104], s[12:13], -v[205:206]
	s_mov_b32 s1, exec_lo
	v_add_f64 v[163:164], v[209:210], v[163:164]
	v_add_f64 v[127:128], v[191:192], v[127:128]
	v_fma_f64 v[191:192], v[91:92], s[4:5], v[211:212]
	v_fma_f64 v[209:210], v[91:92], s[4:5], -v[211:212]
	v_fma_f64 v[211:212], v[93:94], s[22:23], v[213:214]
	v_add_f64 v[4:5], v[111:112], v[4:5]
	v_fma_f64 v[111:112], v[91:92], s[14:15], v[217:218]
	v_fma_f64 v[213:214], v[91:92], s[14:15], -v[217:218]
	v_fma_f64 v[217:218], v[93:94], s[36:37], v[219:220]
	v_add_f64 v[113:114], v[149:150], v[161:162]
	v_fma_f64 v[149:150], v[28:29], s[10:11], v[87:88]
	v_fma_f64 v[161:162], v[30:31], s[10:11], -v[89:90]
	v_mul_f64 v[91:92], v[34:35], s[40:41]
	v_mul_f64 v[93:94], v[32:33], s[40:41]
	v_fma_f64 v[219:220], v[10:11], s[38:39], v[155:156]
	v_fma_f64 v[155:156], v[10:11], s[40:41], v[155:156]
	;; [unrolled: 1-line block ×3, first 2 shown]
	v_fma_f64 v[197:198], v[103:104], s[4:5], -v[201:202]
	v_fma_f64 v[201:202], v[103:104], s[10:11], v[169:170]
	v_fma_f64 v[169:170], v[103:104], s[10:11], -v[169:170]
	v_add_f64 v[165:166], v[187:188], v[165:166]
	v_fma_f64 v[187:188], v[10:11], s[26:27], v[171:172]
	v_fma_f64 v[125:126], v[10:11], s[34:35], v[183:184]
	v_add_f64 v[109:110], v[109:110], v[153:154]
	v_fma_f64 v[153:154], v[103:104], s[16:17], v[107:108]
	v_fma_f64 v[221:222], v[10:11], s[28:29], v[105:106]
	v_fma_f64 v[223:224], v[103:104], s[16:17], -v[107:108]
	v_fma_f64 v[225:226], v[10:11], s[30:31], v[105:106]
	v_fma_f64 v[171:172], v[10:11], s[24:25], v[171:172]
	;; [unrolled: 1-line block ×3, first 2 shown]
	v_add_f64 v[20:21], v[215:216], v[157:158]
	v_add_f64 v[105:106], v[189:190], v[133:134]
	;; [unrolled: 1-line block ×3, first 2 shown]
	v_fma_f64 v[191:192], v[103:104], s[12:13], v[205:206]
	v_add_f64 v[12:13], v[211:212], v[12:13]
	v_fma_f64 v[211:212], v[10:11], s[42:43], v[167:168]
	v_fma_f64 v[167:168], v[10:11], s[36:37], v[167:168]
	v_add_f64 v[205:206], v[209:210], v[127:128]
	v_fma_f64 v[209:210], v[103:104], s[14:15], v[207:208]
	v_add_f64 v[175:176], v[111:112], v[175:176]
	v_add_f64 v[149:150], v[149:150], v[113:114]
	;; [unrolled: 1-line block ×3, first 2 shown]
	v_fma_f64 v[227:228], v[24:25], s[20:21], v[91:92]
	v_fma_f64 v[229:230], v[26:27], s[20:21], -v[93:94]
	v_add_f64 v[213:214], v[213:214], v[4:5]
	v_add_f64 v[217:218], v[217:218], v[6:7]
	v_fma_f64 v[207:208], v[103:104], s[14:15], -v[207:208]
	v_add_f64 v[10:11], v[143:144], v[22:23]
	v_add_f64 v[4:5], v[177:178], v[173:174]
	;; [unrolled: 1-line block ×25, first 2 shown]
	ds_store_b128 v79, v[16:19]
	ds_store_b128 v79, v[20:23] offset:16
	ds_store_b128 v79, v[103:106] offset:32
	;; [unrolled: 1-line block ×12, first 2 shown]
	v_cmpx_gt_u32_e32 3, v62
	s_cbranch_execz .LBB0_14
; %bb.13:
	v_mul_f64 v[125:126], v[77:78], s[40:41]
	v_mul_f64 v[111:112], v[75:76], s[40:41]
	;; [unrolled: 1-line block ×21, first 2 shown]
	v_mov_b32_e32 v66, v124
	v_mul_f64 v[107:108], v[69:70], s[18:19]
	v_mul_f64 v[16:17], v[44:45], s[12:13]
	;; [unrolled: 1-line block ×15, first 2 shown]
	v_dual_mov_b32 v124, v119 :: v_dual_mov_b32 v63, v120
	v_fma_f64 v[161:162], v[52:53], s[20:21], v[125:126]
	v_fma_f64 v[125:126], v[52:53], s[20:21], -v[125:126]
	v_fma_f64 v[163:164], v[50:51], s[20:21], -v[111:112]
	v_fma_f64 v[217:218], v[44:45], s[4:5], v[113:114]
	v_fma_f64 v[113:114], v[44:45], s[4:5], -v[113:114]
	v_fma_f64 v[111:112], v[50:51], s[20:21], v[111:112]
	v_fma_f64 v[221:222], v[52:53], s[10:11], v[115:116]
	v_fma_f64 v[223:224], v[50:51], s[10:11], -v[117:118]
	v_fma_f64 v[115:116], v[52:53], s[10:11], -v[115:116]
	v_fma_f64 v[117:118], v[50:51], s[10:11], v[117:118]
	v_fma_f64 v[231:232], v[50:51], s[14:15], -v[129:130]
	v_fma_f64 v[129:130], v[50:51], s[14:15], v[129:130]
	v_fma_f64 v[239:240], v[50:51], s[12:13], -v[75:76]
	scratch_store_b64 off, v[169:170], off offset:8 ; 8-byte Folded Spill
	v_dual_mov_b32 v170, v92 :: v_dual_mov_b32 v169, v91
	v_mov_b32_e32 v92, v88
	v_fma_f64 v[219:220], v[42:43], s[4:5], -v[109:110]
	v_fma_f64 v[225:226], v[46:47], s[10:11], v[105:106]
	v_fma_f64 v[105:106], v[46:47], s[10:11], -v[105:106]
	v_fma_f64 v[109:110], v[42:43], s[4:5], v[109:110]
	v_fma_f64 v[229:230], v[52:53], s[14:15], v[127:128]
	v_fma_f64 v[127:128], v[52:53], s[14:15], -v[127:128]
	v_fma_f64 v[233:234], v[52:53], s[16:17], v[135:136]
	v_fma_f64 v[235:236], v[50:51], s[16:17], -v[137:138]
	v_fma_f64 v[135:136], v[52:53], s[16:17], -v[135:136]
	v_fma_f64 v[137:138], v[50:51], s[16:17], v[137:138]
	v_fma_f64 v[237:238], v[52:53], s[12:13], v[77:78]
	v_fma_f64 v[52:53], v[52:53], s[12:13], -v[77:78]
	v_fma_f64 v[50:51], v[50:51], s[12:13], v[75:76]
	v_add_f64 v[20:21], v[97:98], v[20:21]
	v_add_f64 v[18:19], v[18:19], -v[95:96]
	v_fma_f64 v[77:78], v[44:45], s[16:17], v[133:134]
	v_fma_f64 v[97:98], v[42:43], s[16:17], -v[141:142]
	v_fma_f64 v[133:134], v[44:45], s[16:17], -v[133:134]
	v_fma_f64 v[141:142], v[42:43], s[16:17], v[141:142]
	v_fma_f64 v[249:250], v[42:43], s[20:21], -v[157:158]
	v_fma_f64 v[157:158], v[42:43], s[20:21], v[157:158]
	v_add_f64 v[161:162], v[2:3], v[161:162]
	v_add_f64 v[125:126], v[2:3], v[125:126]
	;; [unrolled: 1-line block ×3, first 2 shown]
	v_dual_mov_b32 v91, v87 :: v_dual_mov_b32 v88, v81
	v_mov_b32_e32 v87, v80
	v_add_f64 v[111:112], v[0:1], v[111:112]
	v_add_f64 v[221:222], v[2:3], v[221:222]
	;; [unrolled: 1-line block ×6, first 2 shown]
	v_fma_f64 v[81:82], v[42:43], s[14:15], v[71:72]
	v_dual_mov_b32 v120, v94 :: v_dual_mov_b32 v119, v93
	v_dual_mov_b32 v94, v90 :: v_dual_mov_b32 v93, v89
	v_mov_b32_e32 v89, v121
	v_mul_f64 v[22:23], v[40:41], s[16:17]
	v_mul_f64 v[103:104], v[46:47], s[16:17]
	;; [unrolled: 1-line block ×7, first 2 shown]
	v_fma_f64 v[227:228], v[40:41], s[10:11], -v[107:108]
	v_fma_f64 v[107:108], v[40:41], s[10:11], v[107:108]
	v_fma_f64 v[75:76], v[46:47], s[12:13], v[131:132]
	v_fma_f64 v[95:96], v[40:41], s[12:13], -v[139:140]
	v_fma_f64 v[131:132], v[46:47], s[12:13], -v[131:132]
	v_fma_f64 v[139:140], v[40:41], s[12:13], v[139:140]
	v_fma_f64 v[241:242], v[46:47], s[4:5], v[143:144]
	;; [unrolled: 1-line block ×3, first 2 shown]
	v_fma_f64 v[143:144], v[46:47], s[4:5], -v[143:144]
	v_fma_f64 v[145:146], v[44:45], s[10:11], -v[145:146]
	v_fma_f64 v[245:246], v[44:45], s[20:21], v[153:154]
	v_fma_f64 v[247:248], v[40:41], s[14:15], -v[155:156]
	v_fma_f64 v[153:154], v[44:45], s[20:21], -v[153:154]
	v_add_f64 v[161:162], v[217:218], v[161:162]
	v_add_f64 v[113:114], v[113:114], v[125:126]
	v_fma_f64 v[217:218], v[42:43], s[10:11], -v[149:150]
	v_fma_f64 v[149:150], v[42:43], s[10:11], v[149:150]
	v_fma_f64 v[42:43], v[42:43], s[14:15], -v[71:72]
	v_add_f64 v[71:72], v[0:1], v[239:240]
	v_add_f64 v[163:164], v[219:220], v[163:164]
	v_fma_f64 v[125:126], v[40:41], s[4:5], -v[147:148]
	v_fma_f64 v[147:148], v[40:41], s[4:5], v[147:148]
	v_fma_f64 v[219:220], v[46:47], s[14:15], v[151:152]
	v_fma_f64 v[151:152], v[46:47], s[14:15], -v[151:152]
	v_fma_f64 v[155:156], v[40:41], s[14:15], v[155:156]
	v_add_f64 v[229:230], v[2:3], v[229:230]
	v_fma_f64 v[251:252], v[46:47], s[20:21], v[67:68]
	v_add_f64 v[231:232], v[0:1], v[231:232]
	v_fma_f64 v[46:47], v[46:47], s[20:21], -v[67:68]
	v_add_f64 v[67:68], v[2:3], v[127:128]
	v_fma_f64 v[127:128], v[44:45], s[14:15], -v[73:74]
	v_mov_b32_e32 v90, v122
	v_fma_f64 v[121:122], v[38:39], s[12:13], v[165:166]
	v_add_f64 v[233:234], v[2:3], v[233:234]
	v_add_f64 v[135:136], v[2:3], v[135:136]
	;; [unrolled: 1-line block ×8, first 2 shown]
	v_fma_f64 v[44:45], v[44:45], s[14:15], v[73:74]
	v_add_f64 v[73:74], v[2:3], v[237:238]
	v_add_f64 v[16:17], v[85:86], v[16:17]
	;; [unrolled: 1-line block ×3, first 2 shown]
	v_add_f64 v[20:21], v[159:160], -v[83:84]
	v_add_f64 v[83:84], v[133:134], v[115:116]
	v_mul_f64 v[173:174], v[36:37], s[14:15]
	v_mul_f64 v[171:172], v[38:39], s[14:15]
	;; [unrolled: 1-line block ×4, first 2 shown]
	v_add_f64 v[111:112], v[225:226], v[161:162]
	v_add_f64 v[105:106], v[105:106], v[113:114]
	;; [unrolled: 1-line block ×4, first 2 shown]
	v_fma_f64 v[18:19], v[40:41], s[20:21], -v[69:70]
	v_fma_f64 v[40:41], v[40:41], s[20:21], v[69:70]
	v_add_f64 v[69:70], v[141:142], v[117:118]
	v_add_f64 v[129:130], v[149:150], v[129:130]
	;; [unrolled: 1-line block ×3, first 2 shown]
	v_mul_f64 v[183:184], v[56:57], s[38:39]
	v_mul_f64 v[203:204], v[56:57], s[28:29]
	;; [unrolled: 1-line block ×4, first 2 shown]
	v_fma_f64 v[79:80], v[36:37], s[12:13], -v[167:168]
	v_add_f64 v[85:86], v[101:102], v[103:104]
	v_fma_f64 v[103:104], v[36:37], s[12:13], v[167:168]
	v_fma_f64 v[133:134], v[36:37], s[20:21], -v[185:186]
	v_mul_f64 v[181:182], v[54:55], s[36:37]
	v_mul_f64 v[195:196], v[54:55], s[22:23]
	;; [unrolled: 1-line block ×5, first 2 shown]
	v_add_f64 v[137:138], v[157:158], v[137:138]
	v_add_f64 v[52:53], v[127:128], v[52:53]
	v_fma_f64 v[157:158], v[36:37], s[10:11], v[58:59]
	v_add_f64 v[135:136], v[153:154], v[135:136]
	v_add_f64 v[75:76], v[75:76], v[77:78]
	;; [unrolled: 1-line block ×3, first 2 shown]
	v_mul_f64 v[199:200], v[48:49], s[22:23]
	v_fma_f64 v[165:166], v[38:39], s[12:13], -v[165:166]
	v_add_f64 v[22:23], v[22:23], -v[99:100]
	v_add_f64 v[2:3], v[16:17], v[2:3]
	v_add_f64 v[115:116], v[217:218], v[231:232]
	;; [unrolled: 1-line block ×3, first 2 shown]
	v_fma_f64 v[131:132], v[36:37], s[16:17], v[207:208]
	v_add_f64 v[67:68], v[145:146], v[67:68]
	v_mul_f64 v[197:198], v[34:35], s[36:37]
	v_add_f64 v[50:51], v[81:82], v[50:51]
	v_add_f64 v[95:96], v[121:122], v[111:112]
	v_fma_f64 v[121:122], v[36:37], s[16:17], -v[207:208]
	v_add_f64 v[107:108], v[107:108], v[109:110]
	v_add_f64 v[0:1], v[20:21], v[0:1]
	v_fma_f64 v[20:21], v[36:37], s[20:21], v[185:186]
	v_add_f64 v[99:100], v[243:244], v[229:230]
	v_add_f64 v[69:70], v[139:140], v[69:70]
	v_fma_f64 v[139:140], v[36:37], s[4:5], -v[213:214]
	v_add_f64 v[129:130], v[147:148], v[129:130]
	v_fma_f64 v[147:148], v[36:37], s[4:5], v[213:214]
	v_fma_f64 v[36:37], v[36:37], s[10:11], -v[58:59]
	v_add_f64 v[18:19], v[18:19], v[42:43]
	v_fma_f64 v[117:118], v[38:39], s[20:21], v[183:184]
	v_fma_f64 v[153:154], v[38:39], s[10:11], -v[56:57]
	v_fma_f64 v[71:72], v[38:39], s[20:21], -v[183:184]
	v_fma_f64 v[111:112], v[38:39], s[16:17], v[203:204]
	v_fma_f64 v[127:128], v[38:39], s[16:17], -v[203:204]
	v_fma_f64 v[101:102], v[30:31], s[14:15], v[181:182]
	;; [unrolled: 2-line block ×3, first 2 shown]
	v_fma_f64 v[81:82], v[30:31], s[20:21], v[201:202]
	v_add_f64 v[149:150], v[245:246], v[233:234]
	v_add_f64 v[44:45], v[44:45], v[73:74]
	;; [unrolled: 1-line block ×3, first 2 shown]
	v_mul_f64 v[187:188], v[48:49], s[36:37]
	v_mul_f64 v[205:206], v[48:49], s[38:39]
	v_mul_f64 v[215:216], v[48:49], s[26:27]
	v_mul_f64 v[48:49], v[48:49], s[30:31]
	v_add_f64 v[135:136], v[151:152], v[135:136]
	v_add_f64 v[97:98], v[165:166], v[105:106]
	;; [unrolled: 1-line block ×4, first 2 shown]
	v_fma_f64 v[113:114], v[28:29], s[4:5], -v[199:200]
	v_add_f64 v[115:116], v[125:126], v[115:116]
	v_fma_f64 v[125:126], v[38:39], s[4:5], v[211:212]
	v_add_f64 v[67:68], v[143:144], v[67:68]
	v_fma_f64 v[143:144], v[38:39], s[4:5], -v[211:212]
	v_fma_f64 v[38:39], v[38:39], s[10:11], v[56:57]
	v_add_f64 v[56:57], v[173:174], -v[87:88]
	v_add_f64 v[40:41], v[40:41], v[50:51]
	v_add_f64 v[50:51], v[103:104], v[107:108]
	;; [unrolled: 1-line block ×3, first 2 shown]
	v_fma_f64 v[22:23], v[30:31], s[4:5], -v[195:196]
	v_fma_f64 v[103:104], v[30:31], s[20:21], -v[201:202]
	v_add_f64 v[20:21], v[20:21], v[69:70]
	v_add_f64 v[99:100], v[241:242], v[99:100]
	;; [unrolled: 1-line block ×4, first 2 shown]
	v_mul_f64 v[177:178], v[28:29], s[10:11]
	v_add_f64 v[18:19], v[36:37], v[18:19]
	v_add_f64 v[36:37], v[93:94], v[175:176]
	;; [unrolled: 1-line block ×3, first 2 shown]
	v_mov_b32_e32 v119, v124
	v_add_f64 v[42:43], v[89:90], v[171:172]
	v_add_f64 v[52:53], v[117:118], v[75:76]
	;; [unrolled: 1-line block ×3, first 2 shown]
	v_fma_f64 v[133:134], v[30:31], s[16:17], -v[54:55]
	v_add_f64 v[77:78], v[101:102], v[95:96]
	v_add_f64 v[58:59], v[71:72], v[83:84]
	v_fma_f64 v[71:72], v[28:29], s[4:5], v[199:200]
	v_add_f64 v[149:150], v[219:220], v[149:150]
	v_add_f64 v[46:47], v[153:154], v[46:47]
	v_add_f64 v[44:45], v[251:252], v[44:45]
	v_mul_f64 v[189:190], v[32:33], s[30:31]
	v_mul_f64 v[191:192], v[34:35], s[30:31]
	v_mul_f64 v[193:194], v[32:33], s[36:37]
	v_mul_f64 v[69:70], v[32:33], s[24:25]
	v_add_f64 v[95:96], v[145:146], v[97:98]
	v_add_f64 v[97:98], v[247:248], v[105:106]
	v_mul_f64 v[85:86], v[34:35], s[24:25]
	v_add_f64 v[107:108], v[131:132], v[129:130]
	v_add_f64 v[101:102], v[121:122], v[115:116]
	v_fma_f64 v[115:116], v[30:31], s[12:13], v[209:210]
	v_add_f64 v[67:68], v[127:128], v[67:68]
	v_fma_f64 v[127:128], v[30:31], s[12:13], -v[209:210]
	v_fma_f64 v[30:31], v[30:31], s[16:17], v[54:55]
	v_fma_f64 v[54:55], v[24:25], s[14:15], -v[197:198]
	v_mul_f64 v[121:122], v[34:35], s[18:19]
	v_add_f64 v[129:130], v[143:144], v[135:136]
	v_add_f64 v[0:1], v[56:57], v[0:1]
	v_mul_f64 v[34:35], v[34:35], s[22:23]
	v_fma_f64 v[135:136], v[28:29], s[16:17], v[48:49]
	v_add_f64 v[40:41], v[157:158], v[40:41]
	v_add_f64 v[83:84], v[111:112], v[99:100]
	v_mul_f64 v[111:112], v[32:33], s[18:19]
	v_mul_f64 v[32:33], v[32:33], s[22:23]
	v_fma_f64 v[99:100], v[28:29], s[20:21], -v[205:206]
	v_fma_f64 v[105:106], v[28:29], s[20:21], v[205:206]
	v_fma_f64 v[131:132], v[28:29], s[12:13], v[215:216]
	v_add_f64 v[137:138], v[147:148], v[137:138]
	v_fma_f64 v[73:74], v[28:29], s[14:15], v[187:188]
	v_add_f64 v[2:3], v[42:43], v[2:3]
	v_fma_f64 v[141:142], v[28:29], s[14:15], -v[187:188]
	v_add_f64 v[56:57], v[113:114], v[75:76]
	v_add_f64 v[79:80], v[79:80], v[161:162]
	v_add_f64 v[42:43], v[177:178], -v[91:92]
	v_add_f64 v[58:59], v[22:23], v[58:59]
	v_add_f64 v[71:72], v[71:72], v[20:21]
	;; [unrolled: 1-line block ×4, first 2 shown]
	v_fma_f64 v[125:126], v[28:29], s[12:13], -v[215:216]
	v_add_f64 v[38:39], v[38:39], v[44:45]
	v_fma_f64 v[28:29], v[28:29], s[16:17], -v[48:49]
	v_fma_f64 v[75:76], v[24:25], s[14:15], v[197:198]
	v_fma_f64 v[87:88], v[26:27], s[12:13], v[69:70]
	v_fma_f64 v[69:70], v[26:27], s[12:13], -v[69:70]
	v_add_f64 v[97:98], v[139:140], v[97:98]
	v_fma_f64 v[109:110], v[26:27], s[16:17], -v[189:190]
	v_fma_f64 v[44:45], v[24:25], s[16:17], v[191:192]
	v_fma_f64 v[159:160], v[26:27], s[16:17], v[189:190]
	v_fma_f64 v[163:164], v[24:25], s[16:17], -v[191:192]
	v_add_f64 v[67:68], v[103:104], v[67:68]
	v_add_f64 v[52:53], v[16:17], v[52:53]
	v_mov_b32_e32 v120, v63
	v_mov_b32_e32 v124, v66
	v_fma_f64 v[113:114], v[24:25], s[10:11], v[121:122]
	v_add_f64 v[40:41], v[135:136], v[40:41]
	v_add_f64 v[81:82], v[81:82], v[83:84]
	v_fma_f64 v[83:84], v[24:25], s[12:13], -v[85:86]
	v_fma_f64 v[85:86], v[24:25], s[12:13], v[85:86]
	v_add_f64 v[89:90], v[99:100], v[101:102]
	v_add_f64 v[99:100], v[105:106], v[107:108]
	v_fma_f64 v[101:102], v[26:27], s[10:11], v[111:112]
	v_fma_f64 v[105:106], v[24:25], s[10:11], -v[121:122]
	v_fma_f64 v[107:108], v[26:27], s[10:11], -v[111:112]
	v_add_f64 v[133:134], v[36:37], v[2:3]
	scratch_load_b64 v[2:3], off, off offset:8 ; 8-byte Folded Reload
	v_add_f64 v[20:21], v[54:55], v[56:57]
	scratch_load_b64 v[56:57], off, off     ; 8-byte Folded Reload
	v_add_f64 v[111:112], v[127:128], v[129:130]
	v_add_f64 v[121:122], v[131:132], v[137:138]
	;; [unrolled: 1-line block ×4, first 2 shown]
	v_fma_f64 v[115:116], v[26:27], s[4:5], -v[32:33]
	v_fma_f64 v[117:118], v[24:25], s[4:5], v[34:35]
	v_fma_f64 v[73:74], v[26:27], s[14:15], -v[193:194]
	v_add_f64 v[79:80], v[141:142], v[79:80]
	v_fma_f64 v[50:51], v[26:27], s[14:15], v[193:194]
	v_add_f64 v[127:128], v[30:31], v[38:39]
	v_fma_f64 v[129:130], v[24:25], s[4:5], -v[34:35]
	v_add_f64 v[97:98], v[125:126], v[97:98]
	v_fma_f64 v[125:126], v[26:27], s[4:5], v[32:33]
	v_add_f64 v[131:132], v[28:29], v[18:19]
	v_add_f64 v[135:136], v[42:43], v[0:1]
	v_add_f64 v[24:25], v[75:76], v[71:72]
	v_add_f64 v[30:31], v[69:70], v[67:68]
	v_add_f64 v[18:19], v[109:110], v[95:96]
	v_add_f64 v[42:43], v[87:88], v[81:82]
	v_add_f64 v[28:29], v[85:86], v[99:100]
	v_add_f64 v[54:55], v[93:94], v[133:134]
	v_add_f64 v[34:35], v[107:108], v[111:112]
	v_add_f64 v[32:33], v[113:114], v[121:122]
	v_add_f64 v[16:17], v[44:45], v[48:49]
	v_add_f64 v[38:39], v[115:116], v[46:47]
	v_add_f64 v[36:37], v[117:118], v[40:41]
	v_add_f64 v[26:27], v[73:74], v[58:59]
	v_add_f64 v[0:1], v[163:164], v[79:80]
	v_add_f64 v[22:23], v[50:51], v[52:53]
	v_add_f64 v[40:41], v[83:84], v[89:90]
	v_add_f64 v[46:47], v[101:102], v[103:104]
	v_add_f64 v[44:45], v[105:106], v[97:98]
	v_add_f64 v[50:51], v[125:126], v[127:128]
	v_add_f64 v[48:49], v[129:130], v[131:132]
	s_waitcnt vmcnt(1)
	v_add_f64 v[91:92], v[2:3], -v[169:170]
	v_add_f64 v[2:3], v[159:160], v[77:78]
	s_waitcnt vmcnt(0)
	v_mul_i32_i24_e32 v56, 0xd0, v56
	s_delay_alu instid0(VALU_DEP_1) | instskip(NEXT) | instid1(VALU_DEP_4)
	v_add3_u32 v56, 0, v56, v253
	v_add_f64 v[52:53], v[91:92], v[135:136]
	ds_store_b128 v56, v[8:11]
	ds_store_b128 v56, v[12:15] offset:16
	ds_store_b128 v56, v[36:39] offset:32
	;; [unrolled: 1-line block ×12, first 2 shown]
.LBB0_14:
	s_or_b32 exec_lo, exec_lo, s1
	scratch_load_b64 v[0:1], off, off       ; 8-byte Folded Reload
	s_waitcnt vmcnt(0) lgkmcnt(0)
	s_waitcnt_vscnt null, 0x0
	s_barrier
	buffer_gl0_inv
	v_cmp_gt_u32_e64 s0, 26, v62
	v_lshlrev_b32_e32 v0, 4, v0
	s_delay_alu instid0(VALU_DEP_1)
	v_add3_u32 v68, 0, v0, v253
	ds_load_b128 v[20:23], v124
	ds_load_b128 v[0:3], v123 offset:1248
	ds_load_b128 v[40:43], v123 offset:3536
	;; [unrolled: 1-line block ×9, first 2 shown]
	ds_load_b128 v[24:27], v68
	ds_load_b128 v[44:47], v123 offset:7696
	s_and_saveexec_b32 s1, s0
	s_cbranch_execz .LBB0_16
; %bb.15:
	ds_load_b128 v[4:7], v123 offset:2496
	ds_load_b128 v[8:11], v123 offset:5408
	;; [unrolled: 1-line block ×3, first 2 shown]
.LBB0_16:
	s_or_b32 exec_lo, exec_lo, s1
	scratch_load_b64 v[70:71], off, off     ; 8-byte Folded Reload
	v_and_b32_e32 v67, 0xff, v62
	v_add_nc_u16 v69, v62, 0x4e
	s_waitcnt vmcnt(0)
	v_add_nc_u16 v71, v62, 0x75
	s_mov_b32 s4, 0xe8584caa
	s_mov_b32 s5, 0xbfebb67a
	;; [unrolled: 1-line block ×3, first 2 shown]
	v_and_b32_e32 v72, 0xff, v69
	v_and_b32_e32 v73, 0xff, v71
	s_mov_b32 s10, s4
	s_delay_alu instid0(VALU_DEP_2) | instskip(NEXT) | instid1(VALU_DEP_2)
	v_mul_lo_u16 v72, 0x4f, v72
	v_mul_lo_u16 v73, 0x4f, v73
	s_delay_alu instid0(VALU_DEP_2) | instskip(NEXT) | instid1(VALU_DEP_2)
	v_lshrrev_b16 v118, 10, v72
	v_lshrrev_b16 v121, 10, v73
	s_delay_alu instid0(VALU_DEP_2) | instskip(NEXT) | instid1(VALU_DEP_1)
	v_mul_lo_u16 v73, v118, 13
	v_sub_nc_u16 v69, v69, v73
	s_delay_alu instid0(VALU_DEP_1) | instskip(NEXT) | instid1(VALU_DEP_1)
	v_and_b32_e32 v126, 0xff, v69
	v_dual_mov_b32 v66, v70 :: v_dual_lshlrev_b32 v89, 5, v126
	v_mul_lo_u16 v67, 0x4f, v67
	s_delay_alu instid0(VALU_DEP_2) | instskip(NEXT) | instid1(VALU_DEP_2)
	v_and_b32_e32 v70, 0xff, v66
	v_lshrrev_b16 v67, 10, v67
	s_delay_alu instid0(VALU_DEP_2) | instskip(NEXT) | instid1(VALU_DEP_1)
	v_mul_lo_u16 v70, 0x4f, v70
	v_lshrrev_b16 v117, 10, v70
	s_delay_alu instid0(VALU_DEP_3) | instskip(SKIP_1) | instid1(VALU_DEP_3)
	v_mul_lo_u16 v70, v67, 13
	v_and_b32_e32 v67, 0xffff, v67
	v_mul_lo_u16 v72, v117, 13
	s_delay_alu instid0(VALU_DEP_3) | instskip(NEXT) | instid1(VALU_DEP_3)
	v_sub_nc_u16 v70, v62, v70
	v_mad_u32_u24 v67, 0x270, v67, 0
	s_delay_alu instid0(VALU_DEP_3) | instskip(NEXT) | instid1(VALU_DEP_3)
	v_sub_nc_u16 v72, v66, v72
	v_and_b32_e32 v122, 0xff, v70
	v_mul_lo_u16 v70, v121, 13
	s_delay_alu instid0(VALU_DEP_3) | instskip(NEXT) | instid1(VALU_DEP_3)
	v_and_b32_e32 v125, 0xff, v72
	v_lshlrev_b32_e32 v73, 5, v122
	s_delay_alu instid0(VALU_DEP_3)
	v_sub_nc_u16 v77, v71, v70
	s_clause 0x1
	global_load_b128 v[69:72], v73, s[8:9]
	global_load_b128 v[73:76], v73, s[8:9] offset:16
	v_lshlrev_b32_e32 v81, 5, v125
	v_and_b32_e32 v127, 0xff, v77
	s_clause 0x1
	global_load_b128 v[77:80], v81, s[8:9]
	global_load_b128 v[81:84], v81, s[8:9] offset:16
	v_lshlrev_b32_e32 v97, 5, v127
	s_clause 0x3
	global_load_b128 v[85:88], v89, s[8:9]
	global_load_b128 v[89:92], v89, s[8:9] offset:16
	global_load_b128 v[93:96], v97, s[8:9]
	global_load_b128 v[97:100], v97, s[8:9] offset:16
	s_waitcnt vmcnt(0) lgkmcnt(0)
	s_barrier
	buffer_gl0_inv
	v_mul_f64 v[101:102], v[54:55], v[71:72]
	v_mul_f64 v[103:104], v[58:59], v[75:76]
	;; [unrolled: 1-line block ×16, first 2 shown]
	v_fma_f64 v[52:53], v[52:53], v[69:70], v[101:102]
	v_fma_f64 v[56:57], v[56:57], v[73:74], v[103:104]
	v_fma_f64 v[54:55], v[54:55], v[69:70], -v[71:72]
	v_fma_f64 v[58:59], v[58:59], v[73:74], -v[75:76]
	v_fma_f64 v[40:41], v[40:41], v[77:78], v[105:106]
	v_fma_f64 v[48:49], v[48:49], v[81:82], v[107:108]
	v_fma_f64 v[42:43], v[42:43], v[77:78], -v[79:80]
	v_fma_f64 v[50:51], v[50:51], v[81:82], -v[83:84]
	;; [unrolled: 4-line block ×4, first 2 shown]
	v_add_f64 v[85:86], v[20:21], v[52:53]
	v_add_f64 v[69:70], v[52:53], v[56:57]
	v_add_f64 v[52:53], v[52:53], -v[56:57]
	v_add_f64 v[71:72], v[54:55], v[58:59]
	v_add_f64 v[87:88], v[54:55], -v[58:59]
	v_add_f64 v[54:55], v[22:23], v[54:55]
	v_add_f64 v[89:90], v[24:25], v[40:41]
	;; [unrolled: 1-line block ×9, first 2 shown]
	v_add_f64 v[42:43], v[42:43], -v[50:51]
	v_add_f64 v[81:82], v[36:37], v[44:45]
	v_add_f64 v[101:102], v[40:41], -v[48:49]
	v_add_f64 v[83:84], v[38:39], v[46:47]
	v_add_f64 v[97:98], v[16:17], v[36:37]
	;; [unrolled: 1-line block ×3, first 2 shown]
	v_add_f64 v[103:104], v[30:31], -v[34:35]
	v_add_f64 v[105:106], v[28:29], -v[32:33]
	;; [unrolled: 1-line block ×4, first 2 shown]
	v_fma_f64 v[69:70], v[69:70], -0.5, v[20:21]
	v_fma_f64 v[71:72], v[71:72], -0.5, v[22:23]
	;; [unrolled: 1-line block ×4, first 2 shown]
	v_add_f64 v[20:21], v[93:94], v[32:33]
	v_fma_f64 v[77:78], v[77:78], -0.5, v[0:1]
	v_add_f64 v[0:1], v[85:86], v[56:57]
	v_fma_f64 v[79:80], v[79:80], -0.5, v[2:3]
	;; [unrolled: 2-line block ×4, first 2 shown]
	v_add_f64 v[16:17], v[89:90], v[48:49]
	v_add_f64 v[18:19], v[91:92], v[50:51]
	v_add_f64 v[24:25], v[97:98], v[44:45]
	v_add_f64 v[26:27], v[99:100], v[46:47]
	v_fma_f64 v[28:29], v[87:88], s[4:5], v[69:70]
	v_fma_f64 v[32:33], v[87:88], s[10:11], v[69:70]
	;; [unrolled: 1-line block ×4, first 2 shown]
	v_and_b32_e32 v69, 0xffff, v117
	v_and_b32_e32 v70, 0xffff, v118
	v_fma_f64 v[36:37], v[42:43], s[4:5], v[73:74]
	v_fma_f64 v[40:41], v[42:43], s[10:11], v[73:74]
	;; [unrolled: 1-line block ×12, first 2 shown]
	v_mad_u32_u24 v69, 0x270, v69, 0
	v_and_b32_e32 v71, 0xffff, v121
	v_lshlrev_b32_e32 v72, 4, v122
	v_lshlrev_b32_e32 v73, 4, v125
	v_mad_u32_u24 v70, 0x270, v70, 0
	s_delay_alu instid0(VALU_DEP_4) | instskip(NEXT) | instid1(VALU_DEP_4)
	v_mad_u32_u24 v71, 0x270, v71, 0
	v_add3_u32 v67, v67, v72, v253
	s_delay_alu instid0(VALU_DEP_4) | instskip(SKIP_2) | instid1(VALU_DEP_2)
	v_add3_u32 v69, v69, v73, v253
	v_lshlrev_b32_e32 v72, 4, v126
	v_lshlrev_b32_e32 v73, 4, v127
	v_add3_u32 v70, v70, v72, v253
	s_delay_alu instid0(VALU_DEP_2)
	v_add3_u32 v71, v71, v73, v253
	ds_store_b128 v67, v[0:3]
	ds_store_b128 v67, v[28:31] offset:208
	ds_store_b128 v67, v[32:35] offset:416
	ds_store_b128 v69, v[16:19]
	ds_store_b128 v69, v[36:39] offset:208
	ds_store_b128 v69, v[40:43] offset:416
	;; [unrolled: 3-line block ×4, first 2 shown]
	s_and_saveexec_b32 s1, s0
	s_cbranch_execz .LBB0_18
; %bb.17:
	v_add_nc_u16 v0, v62, 0x9c
	s_delay_alu instid0(VALU_DEP_1) | instskip(NEXT) | instid1(VALU_DEP_1)
	v_and_b32_e32 v1, 0xff, v0
	v_mul_lo_u16 v1, 0x4f, v1
	s_delay_alu instid0(VALU_DEP_1) | instskip(NEXT) | instid1(VALU_DEP_1)
	v_lshrrev_b16 v24, 10, v1
	v_mul_lo_u16 v1, v24, 13
	s_delay_alu instid0(VALU_DEP_1) | instskip(NEXT) | instid1(VALU_DEP_1)
	v_sub_nc_u16 v0, v0, v1
	v_and_b32_e32 v25, 0xff, v0
	s_delay_alu instid0(VALU_DEP_1)
	v_lshlrev_b32_e32 v16, 5, v25
	s_clause 0x1
	global_load_b128 v[0:3], v16, s[8:9]
	global_load_b128 v[16:19], v16, s[8:9] offset:16
	s_waitcnt vmcnt(1)
	v_mul_f64 v[20:21], v[8:9], v[2:3]
	s_waitcnt vmcnt(0)
	v_mul_f64 v[22:23], v[12:13], v[18:19]
	v_mul_f64 v[2:3], v[10:11], v[2:3]
	;; [unrolled: 1-line block ×3, first 2 shown]
	s_delay_alu instid0(VALU_DEP_4) | instskip(NEXT) | instid1(VALU_DEP_4)
	v_fma_f64 v[10:11], v[10:11], v[0:1], -v[20:21]
	v_fma_f64 v[14:15], v[14:15], v[16:17], -v[22:23]
	s_delay_alu instid0(VALU_DEP_4) | instskip(NEXT) | instid1(VALU_DEP_4)
	v_fma_f64 v[0:1], v[8:9], v[0:1], v[2:3]
	v_fma_f64 v[8:9], v[12:13], v[16:17], v[18:19]
	s_delay_alu instid0(VALU_DEP_4) | instskip(NEXT) | instid1(VALU_DEP_4)
	v_add_f64 v[18:19], v[6:7], v[10:11]
	v_add_f64 v[2:3], v[10:11], v[14:15]
	v_add_f64 v[22:23], v[10:11], -v[14:15]
	s_delay_alu instid0(VALU_DEP_4)
	v_add_f64 v[12:13], v[0:1], v[8:9]
	v_add_f64 v[16:17], v[0:1], -v[8:9]
	v_add_f64 v[0:1], v[4:5], v[0:1]
	v_fma_f64 v[20:21], v[2:3], -0.5, v[6:7]
	v_add_f64 v[2:3], v[18:19], v[14:15]
	v_fma_f64 v[4:5], v[12:13], -0.5, v[4:5]
	v_and_b32_e32 v12, 0xffff, v24
	v_add_f64 v[0:1], v[0:1], v[8:9]
	v_lshlrev_b32_e32 v13, 4, v25
	s_delay_alu instid0(VALU_DEP_3) | instskip(NEXT) | instid1(VALU_DEP_1)
	v_mad_u32_u24 v12, 0x270, v12, 0
	v_add3_u32 v12, v12, v13, v253
	v_fma_f64 v[10:11], v[16:17], s[10:11], v[20:21]
	v_fma_f64 v[6:7], v[16:17], s[4:5], v[20:21]
	;; [unrolled: 1-line block ×4, first 2 shown]
	ds_store_b128 v12, v[0:3]
	ds_store_b128 v12, v[8:11] offset:208
	ds_store_b128 v12, v[4:7] offset:416
.LBB0_18:
	s_or_b32 exec_lo, exec_lo, s1
	v_mul_u32_u24_e32 v0, 6, v62
	s_waitcnt lgkmcnt(0)
	s_barrier
	buffer_gl0_inv
	s_mov_b32 s0, 0x37e14327
	v_dual_mov_b32 v63, 0 :: v_dual_lshlrev_b32 v20, 4, v0
	s_mov_b32 s4, 0x36b3c0b5
	s_mov_b32 s10, 0xe976ee23
	;; [unrolled: 1-line block ×3, first 2 shown]
	s_clause 0x5
	global_load_b128 v[0:3], v20, s[8:9] offset:416
	global_load_b128 v[4:7], v20, s[8:9] offset:432
	;; [unrolled: 1-line block ×6, first 2 shown]
	ds_load_b128 v[24:27], v123 offset:1248
	ds_load_b128 v[28:31], v123 offset:2496
	;; [unrolled: 1-line block ×12, first 2 shown]
	s_mov_b32 s5, 0x3fac98ee
	s_mov_b32 s11, 0x3fe11646
	;; [unrolled: 1-line block ×10, first 2 shown]
	s_waitcnt vmcnt(5) lgkmcnt(11)
	v_mul_f64 v[81:82], v[26:27], v[2:3]
	v_mul_f64 v[83:84], v[24:25], v[2:3]
	s_waitcnt vmcnt(4) lgkmcnt(10)
	v_mul_f64 v[85:86], v[30:31], v[6:7]
	v_mul_f64 v[87:88], v[28:29], v[6:7]
	;; [unrolled: 3-line block ×4, first 2 shown]
	s_waitcnt lgkmcnt(7)
	v_mul_f64 v[97:98], v[42:43], v[2:3]
	v_mul_f64 v[2:3], v[40:41], v[2:3]
	s_waitcnt lgkmcnt(6)
	v_mul_f64 v[99:100], v[46:47], v[6:7]
	v_mul_f64 v[6:7], v[44:45], v[6:7]
	;; [unrolled: 3-line block ×4, first 2 shown]
	s_waitcnt vmcnt(1) lgkmcnt(2)
	v_mul_f64 v[105:106], v[71:72], v[18:19]
	v_mul_f64 v[107:108], v[69:70], v[18:19]
	s_waitcnt vmcnt(0) lgkmcnt(0)
	v_mul_f64 v[109:110], v[75:76], v[22:23]
	v_mul_f64 v[111:112], v[73:74], v[22:23]
	v_fma_f64 v[24:25], v[24:25], v[0:1], v[81:82]
	v_fma_f64 v[26:27], v[26:27], v[0:1], -v[83:84]
	v_fma_f64 v[28:29], v[28:29], v[4:5], v[85:86]
	v_fma_f64 v[30:31], v[30:31], v[4:5], -v[87:88]
	;; [unrolled: 2-line block ×4, first 2 shown]
	v_mul_f64 v[81:82], v[79:80], v[18:19]
	v_mul_f64 v[18:19], v[77:78], v[18:19]
	;; [unrolled: 1-line block ×4, first 2 shown]
	v_fma_f64 v[40:41], v[40:41], v[0:1], v[97:98]
	v_fma_f64 v[0:1], v[42:43], v[0:1], -v[2:3]
	v_fma_f64 v[2:3], v[44:45], v[4:5], v[99:100]
	v_fma_f64 v[4:5], v[46:47], v[4:5], -v[6:7]
	;; [unrolled: 2-line block ×6, first 2 shown]
	v_add_f64 v[48:49], v[24:25], v[32:33]
	v_add_f64 v[50:51], v[26:27], v[34:35]
	;; [unrolled: 1-line block ×4, first 2 shown]
	v_fma_f64 v[69:70], v[77:78], v[16:17], v[81:82]
	v_fma_f64 v[16:17], v[79:80], v[16:17], -v[18:19]
	v_fma_f64 v[18:19], v[56:57], v[20:21], v[83:84]
	v_fma_f64 v[20:21], v[58:59], v[20:21], -v[22:23]
	v_add_f64 v[28:29], v[28:29], -v[36:37]
	v_add_f64 v[30:31], v[30:31], -v[38:39]
	;; [unrolled: 1-line block ×4, first 2 shown]
	v_add_f64 v[22:23], v[40:41], v[6:7]
	v_add_f64 v[56:57], v[0:1], v[8:9]
	;; [unrolled: 1-line block ×4, first 2 shown]
	v_add_f64 v[10:11], v[2:3], -v[10:11]
	v_add_f64 v[12:13], v[4:5], -v[12:13]
	v_add_f64 v[73:74], v[14:15], v[44:45]
	v_add_f64 v[75:76], v[42:43], v[46:47]
	v_add_f64 v[14:15], v[44:45], -v[14:15]
	v_add_f64 v[36:37], v[46:47], -v[42:43]
	v_add_f64 v[32:33], v[52:53], v[48:49]
	v_add_f64 v[34:35], v[54:55], v[50:51]
	;; [unrolled: 1-line block ×4, first 2 shown]
	v_add_f64 v[18:19], v[18:19], -v[69:70]
	v_add_f64 v[16:17], v[20:21], -v[16:17]
	;; [unrolled: 1-line block ×4, first 2 shown]
	ds_load_b128 v[0:3], v124
	ds_load_b128 v[4:7], v68
	v_add_f64 v[85:86], v[28:29], -v[24:25]
	v_add_f64 v[8:9], v[58:59], v[22:23]
	v_add_f64 v[44:45], v[71:72], v[56:57]
	v_add_f64 v[87:88], v[30:31], -v[26:27]
	v_add_f64 v[46:47], v[48:49], -v[73:74]
	;; [unrolled: 1-line block ×9, first 2 shown]
	v_add_f64 v[28:29], v[14:15], v[28:29]
	v_add_f64 v[30:31], v[36:37], v[30:31]
	v_add_f64 v[14:15], v[24:25], -v[14:15]
	v_add_f64 v[36:37], v[26:27], -v[36:37]
	v_add_f64 v[32:33], v[73:74], v[32:33]
	v_add_f64 v[34:35], v[75:76], v[34:35]
	v_add_f64 v[73:74], v[22:23], -v[38:39]
	v_add_f64 v[75:76], v[56:57], -v[42:43]
	;; [unrolled: 1-line block ×6, first 2 shown]
	v_add_f64 v[52:53], v[18:19], v[10:11]
	v_add_f64 v[12:13], v[16:17], v[12:13]
	v_add_f64 v[97:98], v[38:39], v[8:9]
	v_add_f64 v[44:45], v[42:43], v[44:45]
	v_add_f64 v[42:43], v[42:43], -v[71:72]
	v_add_f64 v[38:39], v[38:39], -v[58:59]
	v_mul_f64 v[46:47], v[46:47], s[0:1]
	v_mul_f64 v[54:55], v[69:70], s[0:1]
	;; [unrolled: 1-line block ×4, first 2 shown]
	v_add_f64 v[18:19], v[20:21], -v[18:19]
	v_mul_f64 v[81:82], v[81:82], s[10:11]
	v_mul_f64 v[83:84], v[83:84], s[10:11]
	v_add_f64 v[16:17], v[40:41], -v[16:17]
	v_add_f64 v[24:25], v[28:29], v[24:25]
	v_add_f64 v[26:27], v[30:31], v[26:27]
	v_mul_f64 v[101:102], v[85:86], s[12:13]
	v_mul_f64 v[103:104], v[87:88], s[12:13]
	s_waitcnt lgkmcnt(1)
	v_add_f64 v[0:1], v[0:1], v[32:33]
	v_add_f64 v[2:3], v[2:3], v[34:35]
	v_mul_f64 v[73:74], v[73:74], s[0:1]
	v_mul_f64 v[75:76], v[75:76], s[0:1]
	;; [unrolled: 1-line block ×3, first 2 shown]
	s_mov_b32 s0, 0x5476071b
	v_mul_f64 v[91:92], v[91:92], s[10:11]
	s_mov_b32 s1, 0x3fe77f67
	s_mov_b32 s11, 0xbfe77f67
	;; [unrolled: 1-line block ×3, first 2 shown]
	s_waitcnt lgkmcnt(0)
	v_add_f64 v[8:9], v[4:5], v[97:98]
	v_add_f64 v[10:11], v[6:7], v[44:45]
	v_add_f64 v[6:7], v[71:72], -v[56:57]
	v_mul_f64 v[56:57], v[42:43], s[4:5]
	v_add_f64 v[4:5], v[58:59], -v[22:23]
	v_mul_f64 v[22:23], v[38:39], s[4:5]
	v_add_f64 v[20:21], v[52:53], v[20:21]
	v_add_f64 v[12:13], v[12:13], v[40:41]
	v_fma_f64 v[28:29], v[77:78], s[4:5], v[46:47]
	v_fma_f64 v[30:31], v[79:80], s[4:5], v[54:55]
	v_fma_f64 v[40:41], v[48:49], s[0:1], -v[69:70]
	v_fma_f64 v[52:53], v[50:51], s[0:1], -v[99:100]
	;; [unrolled: 1-line block ×5, first 2 shown]
	v_mul_f64 v[105:106], v[93:94], s[12:13]
	v_mul_f64 v[107:108], v[95:96], s[12:13]
	v_fma_f64 v[58:59], v[14:15], s[16:17], v[81:82]
	v_fma_f64 v[69:70], v[36:37], s[16:17], v[83:84]
	v_fma_f64 v[77:78], v[87:88], s[12:13], -v[83:84]
	v_fma_f64 v[14:15], v[14:15], s[18:19], -v[101:102]
	;; [unrolled: 1-line block ×3, first 2 shown]
	v_fma_f64 v[32:33], v[32:33], s[14:15], v[0:1]
	v_fma_f64 v[34:35], v[34:35], s[14:15], v[2:3]
	v_fma_f64 v[38:39], v[38:39], s[4:5], v[73:74]
	v_fma_f64 v[42:43], v[42:43], s[4:5], v[75:76]
	v_fma_f64 v[50:51], v[18:19], s[16:17], v[89:90]
	v_fma_f64 v[79:80], v[93:94], s[12:13], -v[89:90]
	v_fma_f64 v[54:55], v[16:17], s[16:17], v[91:92]
	v_fma_f64 v[81:82], v[95:96], s[12:13], -v[91:92]
	s_mov_b32 s5, exec_lo
	v_fma_f64 v[83:84], v[97:98], s[14:15], v[8:9]
	v_fma_f64 v[44:45], v[44:45], s[14:15], v[10:11]
	v_fma_f64 v[75:76], v[6:7], s[10:11], -v[75:76]
	v_fma_f64 v[6:7], v[6:7], s[0:1], -v[56:57]
	;; [unrolled: 1-line block ×4, first 2 shown]
	s_mov_b32 s0, 0x37c3f68c
	s_mov_b32 s1, 0xbfdc38aa
	v_fma_f64 v[18:19], v[18:19], s[18:19], -v[105:106]
	v_fma_f64 v[16:17], v[16:17], s[18:19], -v[107:108]
	v_fma_f64 v[56:57], v[24:25], s[0:1], v[58:59]
	v_fma_f64 v[58:59], v[26:27], s[0:1], v[69:70]
	;; [unrolled: 1-line block ×6, first 2 shown]
	v_add_f64 v[85:86], v[28:29], v[32:33]
	v_add_f64 v[28:29], v[46:47], v[32:33]
	;; [unrolled: 1-line block ×6, first 2 shown]
	v_fma_f64 v[89:90], v[20:21], s[0:1], v[50:51]
	v_fma_f64 v[50:51], v[20:21], s[0:1], v[79:80]
	;; [unrolled: 1-line block ×4, first 2 shown]
	v_add_f64 v[79:80], v[38:39], v[83:84]
	v_add_f64 v[81:82], v[42:43], v[44:45]
	;; [unrolled: 1-line block ×6, first 2 shown]
	v_fma_f64 v[54:55], v[20:21], s[0:1], v[18:19]
	v_fma_f64 v[52:53], v[12:13], s[0:1], v[16:17]
	s_add_u32 s1, s8, 0x2150
	s_addc_u32 s4, s9, 0
	v_add_f64 v[12:13], v[58:59], v[85:86]
	v_add_f64 v[16:17], v[36:37], v[28:29]
	v_add_f64 v[14:15], v[87:88], -v[56:57]
	v_add_f64 v[18:19], v[30:31], -v[77:78]
	;; [unrolled: 1-line block ×3, first 2 shown]
	v_add_f64 v[22:23], v[69:70], v[26:27]
	v_add_f64 v[24:25], v[71:72], v[24:25]
	v_add_f64 v[26:27], v[26:27], -v[69:70]
	v_add_f64 v[28:29], v[28:29], -v[36:37]
	v_add_f64 v[30:31], v[77:78], v[30:31]
	v_add_f64 v[32:33], v[85:86], -v[58:59]
	v_add_f64 v[34:35], v[56:57], v[87:88]
	v_add_f64 v[36:37], v[91:92], v[79:80]
	v_add_f64 v[38:39], v[81:82], -v[89:90]
	v_add_f64 v[56:57], v[79:80], -v[91:92]
	v_add_f64 v[46:47], v[50:51], v[6:7]
	v_add_f64 v[50:51], v[6:7], -v[50:51]
	scratch_load_b64 v[6:7], off, off       ; 8-byte Folded Reload
	v_add_f64 v[44:45], v[4:5], -v[48:49]
	v_add_f64 v[48:49], v[48:49], v[4:5]
	v_add_f64 v[58:59], v[89:90], v[81:82]
	s_waitcnt vmcnt(0)
	v_mov_b32_e32 v7, v63
	v_lshlrev_b64 v[4:5], 4, v[62:63]
	s_barrier
	buffer_gl0_inv
	v_add_f64 v[42:43], v[75:76], -v[54:55]
	v_add_f64 v[40:41], v[52:53], v[73:74]
	v_add_f64 v[52:53], v[73:74], -v[52:53]
	v_add_f64 v[54:55], v[54:55], v[75:76]
	v_add_co_u32 v63, s0, s8, v4
	s_delay_alu instid0(VALU_DEP_1)
	v_add_co_ci_u32_e64 v67, s0, s9, v5, s0
	ds_store_b128 v123, v[0:3]
	ds_store_b128 v123, v[12:15] offset:624
	ds_store_b128 v123, v[16:19] offset:1248
	;; [unrolled: 1-line block ×13, first 2 shown]
	s_waitcnt lgkmcnt(0)
	s_barrier
	buffer_gl0_inv
	v_mov_b32_e32 v66, v6
	v_lshlrev_b64 v[6:7], 4, v[6:7]
	s_delay_alu instid0(VALU_DEP_1) | instskip(NEXT) | instid1(VALU_DEP_1)
	v_add_co_u32 v71, s0, s8, v6
	v_add_co_ci_u32_e64 v72, s0, s9, v7, s0
	v_add_co_u32 v69, s0, 0x1000, v63
	s_delay_alu instid0(VALU_DEP_1) | instskip(NEXT) | instid1(VALU_DEP_4)
	v_add_co_ci_u32_e64 v70, s0, 0, v67, s0
	v_add_co_u32 v71, s0, 0x1000, v71
	s_delay_alu instid0(VALU_DEP_1)
	v_add_co_ci_u32_e64 v72, s0, 0, v72, s0
	s_clause 0x6
	global_load_b128 v[0:3], v[69:70], off offset:64
	global_load_b128 v[8:11], v[71:72], off offset:64
	;; [unrolled: 1-line block ×7, first 2 shown]
	ds_load_b128 v[32:35], v123 offset:4368
	ds_load_b128 v[36:39], v123 offset:4992
	;; [unrolled: 1-line block ×7, first 2 shown]
	v_lshl_add_u32 v63, v254, 4, v255
	s_waitcnt vmcnt(6) lgkmcnt(6)
	v_mul_f64 v[69:70], v[34:35], v[2:3]
	v_mul_f64 v[2:3], v[32:33], v[2:3]
	s_waitcnt vmcnt(5) lgkmcnt(5)
	v_mul_f64 v[71:72], v[38:39], v[10:11]
	v_mul_f64 v[10:11], v[36:37], v[10:11]
	;; [unrolled: 3-line block ×7, first 2 shown]
	v_fma_f64 v[32:33], v[32:33], v[0:1], v[69:70]
	v_fma_f64 v[34:35], v[34:35], v[0:1], -v[2:3]
	v_fma_f64 v[36:37], v[36:37], v[8:9], v[71:72]
	v_fma_f64 v[38:39], v[38:39], v[8:9], -v[10:11]
	;; [unrolled: 2-line block ×7, first 2 shown]
	ds_load_b128 v[0:3], v124
	ds_load_b128 v[8:11], v68
	ds_load_b128 v[12:15], v123 offset:1248
	ds_load_b128 v[16:19], v123 offset:1872
	;; [unrolled: 1-line block ×5, first 2 shown]
	s_waitcnt lgkmcnt(0)
	s_barrier
	buffer_gl0_inv
	v_add_f64 v[32:33], v[0:1], -v[32:33]
	v_add_f64 v[34:35], v[2:3], -v[34:35]
	;; [unrolled: 1-line block ×14, first 2 shown]
	v_fma_f64 v[0:1], v[0:1], 2.0, -v[32:33]
	v_fma_f64 v[2:3], v[2:3], 2.0, -v[34:35]
	;; [unrolled: 1-line block ×14, first 2 shown]
	ds_store_b128 v123, v[0:3]
	ds_store_b128 v123, v[32:35] offset:4368
	ds_store_b128 v68, v[8:11]
	ds_store_b128 v68, v[36:39] offset:4368
	ds_store_b128 v123, v[12:15] offset:1248
	;; [unrolled: 1-line block ×11, first 2 shown]
	s_waitcnt lgkmcnt(0)
	s_barrier
	buffer_gl0_inv
	ds_load_b128 v[0:3], v124
	v_sub_nc_u32_e32 v12, v120, v119
                                        ; implicit-def: $vgpr10_vgpr11
                                        ; implicit-def: $vgpr8_vgpr9
	v_cmpx_ne_u32_e32 0, v62
	s_xor_b32 s5, exec_lo, s5
	s_cbranch_execz .LBB0_20
; %bb.19:
	v_add_co_u32 v8, s0, s1, v4
	s_delay_alu instid0(VALU_DEP_1)
	v_add_co_ci_u32_e64 v9, s0, s4, v5, s0
	global_load_b128 v[13:16], v[8:9], off
	ds_load_b128 v[8:11], v12 offset:8736
	s_waitcnt lgkmcnt(0)
	v_add_f64 v[17:18], v[0:1], -v[8:9]
	v_add_f64 v[19:20], v[2:3], v[10:11]
	v_add_f64 v[2:3], v[2:3], -v[10:11]
	v_add_f64 v[0:1], v[0:1], v[8:9]
	s_delay_alu instid0(VALU_DEP_4) | instskip(NEXT) | instid1(VALU_DEP_4)
	v_mul_f64 v[10:11], v[17:18], 0.5
	v_mul_f64 v[17:18], v[19:20], 0.5
	s_delay_alu instid0(VALU_DEP_4) | instskip(SKIP_1) | instid1(VALU_DEP_3)
	v_mul_f64 v[2:3], v[2:3], 0.5
	s_waitcnt vmcnt(0)
	v_mul_f64 v[8:9], v[10:11], v[15:16]
	s_delay_alu instid0(VALU_DEP_2) | instskip(SKIP_1) | instid1(VALU_DEP_3)
	v_fma_f64 v[19:20], v[17:18], v[15:16], v[2:3]
	v_fma_f64 v[2:3], v[17:18], v[15:16], -v[2:3]
	v_fma_f64 v[15:16], v[0:1], 0.5, v[8:9]
	v_fma_f64 v[0:1], v[0:1], 0.5, -v[8:9]
	s_delay_alu instid0(VALU_DEP_4) | instskip(NEXT) | instid1(VALU_DEP_4)
	v_fma_f64 v[19:20], -v[13:14], v[10:11], v[19:20]
	v_fma_f64 v[2:3], -v[13:14], v[10:11], v[2:3]
	ds_store_b64 v124, v[19:20] offset:8
	ds_store_b64 v12, v[2:3] offset:8744
	v_fma_f64 v[8:9], v[17:18], v[13:14], v[15:16]
	v_fma_f64 v[10:11], -v[17:18], v[13:14], v[0:1]
                                        ; implicit-def: $vgpr0_vgpr1
.LBB0_20:
	s_and_not1_saveexec_b32 s0, s5
	s_cbranch_execz .LBB0_22
; %bb.21:
	s_waitcnt lgkmcnt(0)
	v_add_f64 v[8:9], v[0:1], v[2:3]
	v_add_f64 v[10:11], v[0:1], -v[2:3]
	s_mov_b32 s8, 0
	s_delay_alu instid0(SALU_CYCLE_1) | instskip(NEXT) | instid1(SALU_CYCLE_1)
	s_mov_b32 s9, s8
	v_dual_mov_b32 v0, s8 :: v_dual_mov_b32 v1, s9
	ds_store_b64 v124, v[0:1] offset:8
	ds_store_b64 v12, v[0:1] offset:8744
	ds_load_b64 v[0:1], v120 offset:4376
	s_waitcnt lgkmcnt(0)
	v_xor_b32_e32 v1, 0x80000000, v1
	ds_store_b64 v120, v[0:1] offset:4376
.LBB0_22:
	s_or_b32 exec_lo, exec_lo, s0
	s_waitcnt lgkmcnt(0)
	v_add_co_u32 v0, s0, s1, v6
	s_delay_alu instid0(VALU_DEP_1) | instskip(SKIP_1) | instid1(VALU_DEP_1)
	v_add_co_ci_u32_e64 v1, s0, s4, v7, s0
	v_add_co_u32 v17, s0, s1, v4
	v_add_co_ci_u32_e64 v18, s0, s4, v5, s0
	global_load_b128 v[0:3], v[0:1], off
	v_lshl_add_u32 v23, v66, 4, v120
	global_load_b128 v[4:7], v[17:18], off offset:1248
	ds_store_b64 v124, v[8:9]
	ds_store_b64 v12, v[10:11] offset:8736
	ds_load_b128 v[8:11], v23
	ds_load_b128 v[13:16], v12 offset:8112
	s_waitcnt lgkmcnt(0)
	v_add_f64 v[19:20], v[8:9], -v[13:14]
	v_add_f64 v[21:22], v[10:11], v[15:16]
	v_add_f64 v[10:11], v[10:11], -v[15:16]
	v_add_f64 v[8:9], v[8:9], v[13:14]
	s_delay_alu instid0(VALU_DEP_4) | instskip(NEXT) | instid1(VALU_DEP_4)
	v_mul_f64 v[15:16], v[19:20], 0.5
	v_mul_f64 v[19:20], v[21:22], 0.5
	s_delay_alu instid0(VALU_DEP_4) | instskip(SKIP_1) | instid1(VALU_DEP_3)
	v_mul_f64 v[10:11], v[10:11], 0.5
	s_waitcnt vmcnt(1)
	v_mul_f64 v[13:14], v[15:16], v[2:3]
	s_delay_alu instid0(VALU_DEP_2) | instskip(SKIP_1) | instid1(VALU_DEP_3)
	v_fma_f64 v[21:22], v[19:20], v[2:3], v[10:11]
	v_fma_f64 v[2:3], v[19:20], v[2:3], -v[10:11]
	v_fma_f64 v[10:11], v[8:9], 0.5, v[13:14]
	v_fma_f64 v[8:9], v[8:9], 0.5, -v[13:14]
	s_delay_alu instid0(VALU_DEP_4) | instskip(NEXT) | instid1(VALU_DEP_4)
	v_fma_f64 v[13:14], -v[0:1], v[15:16], v[21:22]
	v_fma_f64 v[2:3], -v[0:1], v[15:16], v[2:3]
	s_delay_alu instid0(VALU_DEP_4) | instskip(NEXT) | instid1(VALU_DEP_4)
	v_fma_f64 v[15:16], v[19:20], v[0:1], v[10:11]
	v_fma_f64 v[0:1], -v[19:20], v[0:1], v[8:9]
	global_load_b128 v[8:11], v[17:18], off offset:1872
	ds_store_2addr_b64 v23, v[15:16], v[13:14] offset1:1
	ds_store_b128 v12, v[0:3] offset:8112
	ds_load_b128 v[0:3], v124 offset:1248
	ds_load_b128 v[13:16], v12 offset:7488
	s_waitcnt lgkmcnt(0)
	v_add_f64 v[19:20], v[0:1], -v[13:14]
	v_add_f64 v[21:22], v[2:3], v[15:16]
	v_add_f64 v[2:3], v[2:3], -v[15:16]
	v_add_f64 v[0:1], v[0:1], v[13:14]
	s_delay_alu instid0(VALU_DEP_4) | instskip(NEXT) | instid1(VALU_DEP_4)
	v_mul_f64 v[15:16], v[19:20], 0.5
	v_mul_f64 v[19:20], v[21:22], 0.5
	s_delay_alu instid0(VALU_DEP_4) | instskip(SKIP_1) | instid1(VALU_DEP_3)
	v_mul_f64 v[2:3], v[2:3], 0.5
	s_waitcnt vmcnt(1)
	v_mul_f64 v[13:14], v[15:16], v[6:7]
	s_delay_alu instid0(VALU_DEP_2) | instskip(SKIP_1) | instid1(VALU_DEP_3)
	v_fma_f64 v[21:22], v[19:20], v[6:7], v[2:3]
	v_fma_f64 v[2:3], v[19:20], v[6:7], -v[2:3]
	v_fma_f64 v[6:7], v[0:1], 0.5, v[13:14]
	v_fma_f64 v[0:1], v[0:1], 0.5, -v[13:14]
	s_delay_alu instid0(VALU_DEP_4) | instskip(NEXT) | instid1(VALU_DEP_4)
	v_fma_f64 v[13:14], -v[4:5], v[15:16], v[21:22]
	v_fma_f64 v[2:3], -v[4:5], v[15:16], v[2:3]
	s_delay_alu instid0(VALU_DEP_4) | instskip(NEXT) | instid1(VALU_DEP_4)
	v_fma_f64 v[15:16], v[19:20], v[4:5], v[6:7]
	v_fma_f64 v[0:1], -v[19:20], v[4:5], v[0:1]
	global_load_b128 v[4:7], v[17:18], off offset:2496
	ds_store_2addr_b64 v124, v[15:16], v[13:14] offset0:156 offset1:157
	ds_store_b128 v12, v[0:3] offset:7488
	ds_load_b128 v[0:3], v124 offset:1872
	ds_load_b128 v[13:16], v12 offset:6864
	s_waitcnt lgkmcnt(0)
	v_add_f64 v[19:20], v[0:1], -v[13:14]
	v_add_f64 v[21:22], v[2:3], v[15:16]
	v_add_f64 v[2:3], v[2:3], -v[15:16]
	v_add_f64 v[0:1], v[0:1], v[13:14]
	s_delay_alu instid0(VALU_DEP_4) | instskip(NEXT) | instid1(VALU_DEP_4)
	v_mul_f64 v[15:16], v[19:20], 0.5
	v_mul_f64 v[19:20], v[21:22], 0.5
	s_delay_alu instid0(VALU_DEP_4) | instskip(SKIP_1) | instid1(VALU_DEP_3)
	v_mul_f64 v[2:3], v[2:3], 0.5
	s_waitcnt vmcnt(1)
	v_mul_f64 v[13:14], v[15:16], v[10:11]
	s_delay_alu instid0(VALU_DEP_2) | instskip(SKIP_1) | instid1(VALU_DEP_3)
	v_fma_f64 v[21:22], v[19:20], v[10:11], v[2:3]
	v_fma_f64 v[2:3], v[19:20], v[10:11], -v[2:3]
	v_fma_f64 v[10:11], v[0:1], 0.5, v[13:14]
	v_fma_f64 v[0:1], v[0:1], 0.5, -v[13:14]
	s_delay_alu instid0(VALU_DEP_4) | instskip(NEXT) | instid1(VALU_DEP_4)
	v_fma_f64 v[13:14], -v[8:9], v[15:16], v[21:22]
	v_fma_f64 v[2:3], -v[8:9], v[15:16], v[2:3]
	s_delay_alu instid0(VALU_DEP_4) | instskip(NEXT) | instid1(VALU_DEP_4)
	v_fma_f64 v[15:16], v[19:20], v[8:9], v[10:11]
	v_fma_f64 v[0:1], -v[19:20], v[8:9], v[0:1]
	global_load_b128 v[8:11], v[17:18], off offset:3120
	ds_store_2addr_b64 v124, v[15:16], v[13:14] offset0:234 offset1:235
	ds_store_b128 v12, v[0:3] offset:6864
	ds_load_b128 v[0:3], v124 offset:2496
	ds_load_b128 v[13:16], v12 offset:6240
	s_waitcnt lgkmcnt(0)
	v_add_f64 v[19:20], v[0:1], -v[13:14]
	v_add_f64 v[21:22], v[2:3], v[15:16]
	v_add_f64 v[2:3], v[2:3], -v[15:16]
	v_add_f64 v[0:1], v[0:1], v[13:14]
	s_delay_alu instid0(VALU_DEP_4) | instskip(NEXT) | instid1(VALU_DEP_4)
	v_mul_f64 v[15:16], v[19:20], 0.5
	v_mul_f64 v[19:20], v[21:22], 0.5
	s_delay_alu instid0(VALU_DEP_4) | instskip(SKIP_1) | instid1(VALU_DEP_3)
	v_mul_f64 v[2:3], v[2:3], 0.5
	s_waitcnt vmcnt(1)
	v_mul_f64 v[13:14], v[15:16], v[6:7]
	s_delay_alu instid0(VALU_DEP_2) | instskip(SKIP_1) | instid1(VALU_DEP_3)
	v_fma_f64 v[21:22], v[19:20], v[6:7], v[2:3]
	v_fma_f64 v[2:3], v[19:20], v[6:7], -v[2:3]
	v_fma_f64 v[6:7], v[0:1], 0.5, v[13:14]
	v_fma_f64 v[0:1], v[0:1], 0.5, -v[13:14]
	s_delay_alu instid0(VALU_DEP_4) | instskip(NEXT) | instid1(VALU_DEP_4)
	v_fma_f64 v[13:14], -v[4:5], v[15:16], v[21:22]
	v_fma_f64 v[2:3], -v[4:5], v[15:16], v[2:3]
	v_add_nc_u32_e32 v21, 0x800, v124
	v_fma_f64 v[15:16], v[19:20], v[4:5], v[6:7]
	v_fma_f64 v[0:1], -v[19:20], v[4:5], v[0:1]
	global_load_b128 v[4:7], v[17:18], off offset:3744
	ds_store_2addr_b64 v21, v[15:16], v[13:14] offset0:56 offset1:57
	ds_store_b128 v12, v[0:3] offset:6240
	ds_load_b128 v[0:3], v124 offset:3120
	ds_load_b128 v[13:16], v12 offset:5616
	s_waitcnt lgkmcnt(0)
	v_add_f64 v[17:18], v[0:1], -v[13:14]
	v_add_f64 v[19:20], v[2:3], v[15:16]
	v_add_f64 v[2:3], v[2:3], -v[15:16]
	v_add_f64 v[0:1], v[0:1], v[13:14]
	s_delay_alu instid0(VALU_DEP_4) | instskip(NEXT) | instid1(VALU_DEP_4)
	v_mul_f64 v[15:16], v[17:18], 0.5
	v_mul_f64 v[17:18], v[19:20], 0.5
	s_delay_alu instid0(VALU_DEP_4) | instskip(SKIP_1) | instid1(VALU_DEP_3)
	v_mul_f64 v[2:3], v[2:3], 0.5
	s_waitcnt vmcnt(1)
	v_mul_f64 v[13:14], v[15:16], v[10:11]
	s_delay_alu instid0(VALU_DEP_2) | instskip(SKIP_1) | instid1(VALU_DEP_3)
	v_fma_f64 v[19:20], v[17:18], v[10:11], v[2:3]
	v_fma_f64 v[2:3], v[17:18], v[10:11], -v[2:3]
	v_fma_f64 v[10:11], v[0:1], 0.5, v[13:14]
	v_fma_f64 v[0:1], v[0:1], 0.5, -v[13:14]
	s_delay_alu instid0(VALU_DEP_4) | instskip(NEXT) | instid1(VALU_DEP_4)
	v_fma_f64 v[13:14], -v[8:9], v[15:16], v[19:20]
	v_fma_f64 v[2:3], -v[8:9], v[15:16], v[2:3]
	s_delay_alu instid0(VALU_DEP_4) | instskip(NEXT) | instid1(VALU_DEP_4)
	v_fma_f64 v[10:11], v[17:18], v[8:9], v[10:11]
	v_fma_f64 v[0:1], -v[17:18], v[8:9], v[0:1]
	ds_store_2addr_b64 v21, v[10:11], v[13:14] offset0:134 offset1:135
	ds_store_b128 v12, v[0:3] offset:5616
	ds_load_b128 v[0:3], v124 offset:3744
	ds_load_b128 v[8:11], v12 offset:4992
	s_waitcnt lgkmcnt(0)
	v_add_f64 v[13:14], v[0:1], -v[8:9]
	v_add_f64 v[15:16], v[2:3], v[10:11]
	v_add_f64 v[2:3], v[2:3], -v[10:11]
	v_add_f64 v[0:1], v[0:1], v[8:9]
	s_delay_alu instid0(VALU_DEP_4) | instskip(NEXT) | instid1(VALU_DEP_4)
	v_mul_f64 v[10:11], v[13:14], 0.5
	v_mul_f64 v[13:14], v[15:16], 0.5
	s_delay_alu instid0(VALU_DEP_4) | instskip(SKIP_1) | instid1(VALU_DEP_3)
	v_mul_f64 v[2:3], v[2:3], 0.5
	s_waitcnt vmcnt(0)
	v_mul_f64 v[8:9], v[10:11], v[6:7]
	s_delay_alu instid0(VALU_DEP_2) | instskip(SKIP_1) | instid1(VALU_DEP_3)
	v_fma_f64 v[15:16], v[13:14], v[6:7], v[2:3]
	v_fma_f64 v[2:3], v[13:14], v[6:7], -v[2:3]
	v_fma_f64 v[6:7], v[0:1], 0.5, v[8:9]
	v_fma_f64 v[0:1], v[0:1], 0.5, -v[8:9]
	s_delay_alu instid0(VALU_DEP_4) | instskip(NEXT) | instid1(VALU_DEP_4)
	v_fma_f64 v[8:9], -v[4:5], v[10:11], v[15:16]
	v_fma_f64 v[2:3], -v[4:5], v[10:11], v[2:3]
	s_delay_alu instid0(VALU_DEP_4) | instskip(NEXT) | instid1(VALU_DEP_4)
	v_fma_f64 v[6:7], v[13:14], v[4:5], v[6:7]
	v_fma_f64 v[0:1], -v[13:14], v[4:5], v[0:1]
	ds_store_2addr_b64 v21, v[6:7], v[8:9] offset0:212 offset1:213
	ds_store_b128 v12, v[0:3] offset:4992
	s_waitcnt lgkmcnt(0)
	s_barrier
	buffer_gl0_inv
	s_and_saveexec_b32 s0, vcc_lo
	s_cbranch_execz .LBB0_25
; %bb.23:
	v_mul_lo_u32 v0, s3, v64
	v_mul_lo_u32 v3, s2, v65
	v_mad_u64_u32 v[1:2], null, s2, v64, 0
	v_mov_b32_e32 v63, 0
	v_lshlrev_b64 v[11:12], 4, v[60:61]
	v_add_nc_u32_e32 v13, 39, v62
	v_add_nc_u32_e32 v25, 0xc3, v62
	s_delay_alu instid0(VALU_DEP_4)
	v_dual_mov_b32 v28, v63 :: v_dual_add_nc_u32 v27, 0xea, v62
	v_add3_u32 v2, v2, v3, v0
	v_lshl_add_u32 v0, v62, 4, v120
	v_mov_b32_e32 v14, v63
	ds_load_b128 v[3:6], v0
	ds_load_b128 v[7:10], v0 offset:624
	v_lshlrev_b64 v[1:2], 4, v[1:2]
	v_lshlrev_b64 v[15:16], 4, v[62:63]
	v_mov_b32_e32 v26, v63
	s_delay_alu instid0(VALU_DEP_3) | instskip(NEXT) | instid1(VALU_DEP_4)
	v_add_co_u32 v1, vcc_lo, s6, v1
	v_add_co_ci_u32_e32 v2, vcc_lo, s7, v2, vcc_lo
	s_delay_alu instid0(VALU_DEP_3) | instskip(NEXT) | instid1(VALU_DEP_3)
	v_lshlrev_b64 v[25:26], 4, v[25:26]
	v_add_co_u32 v1, vcc_lo, v1, v11
	s_delay_alu instid0(VALU_DEP_3) | instskip(SKIP_1) | instid1(VALU_DEP_3)
	v_add_co_ci_u32_e32 v2, vcc_lo, v2, v12, vcc_lo
	v_lshlrev_b64 v[11:12], 4, v[13:14]
	v_add_co_u32 v13, vcc_lo, v1, v15
	s_delay_alu instid0(VALU_DEP_3) | instskip(SKIP_1) | instid1(VALU_DEP_4)
	v_add_co_ci_u32_e32 v14, vcc_lo, v2, v16, vcc_lo
	v_dual_mov_b32 v16, v63 :: v_dual_add_nc_u32 v15, 0x4e, v62
	v_add_co_u32 v11, vcc_lo, v1, v11
	v_add_co_ci_u32_e32 v12, vcc_lo, v2, v12, vcc_lo
	s_waitcnt lgkmcnt(1)
	global_store_b128 v[13:14], v[3:6], off
	s_waitcnt lgkmcnt(0)
	global_store_b128 v[11:12], v[7:10], off
	v_lshlrev_b64 v[3:4], 4, v[15:16]
	v_dual_mov_b32 v12, v63 :: v_dual_add_nc_u32 v11, 0x75, v62
	v_dual_mov_b32 v14, v63 :: v_dual_add_nc_u32 v13, 0x9c, v62
	s_delay_alu instid0(VALU_DEP_3) | instskip(NEXT) | instid1(VALU_DEP_4)
	v_add_co_u32 v19, vcc_lo, v1, v3
	v_add_co_ci_u32_e32 v20, vcc_lo, v2, v4, vcc_lo
	ds_load_b128 v[3:6], v0 offset:1248
	ds_load_b128 v[7:10], v0 offset:1872
	v_lshlrev_b64 v[21:22], 4, v[11:12]
	v_lshlrev_b64 v[23:24], 4, v[13:14]
	ds_load_b128 v[11:14], v0 offset:2496
	ds_load_b128 v[15:18], v0 offset:3120
	v_add_co_u32 v21, vcc_lo, v1, v21
	v_add_co_ci_u32_e32 v22, vcc_lo, v2, v22, vcc_lo
	v_add_co_u32 v23, vcc_lo, v1, v23
	v_add_co_ci_u32_e32 v24, vcc_lo, v2, v24, vcc_lo
	;; [unrolled: 2-line block ×3, first 2 shown]
	s_waitcnt lgkmcnt(3)
	global_store_b128 v[19:20], v[3:6], off
	s_waitcnt lgkmcnt(2)
	global_store_b128 v[21:22], v[7:10], off
	;; [unrolled: 2-line block ×4, first 2 shown]
	v_lshlrev_b64 v[3:4], 4, v[27:28]
	v_dual_mov_b32 v12, v63 :: v_dual_add_nc_u32 v11, 0x111, v62
	v_dual_mov_b32 v14, v63 :: v_dual_add_nc_u32 v13, 0x138, v62
	;; [unrolled: 1-line block ×3, first 2 shown]
	s_delay_alu instid0(VALU_DEP_4)
	v_add_co_u32 v19, vcc_lo, v1, v3
	v_add_co_ci_u32_e32 v20, vcc_lo, v2, v4, vcc_lo
	ds_load_b128 v[3:6], v0 offset:3744
	ds_load_b128 v[7:10], v0 offset:4368
	v_lshlrev_b64 v[21:22], 4, v[11:12]
	v_lshlrev_b64 v[23:24], 4, v[13:14]
	ds_load_b128 v[11:14], v0 offset:4992
	ds_load_b128 v[15:18], v0 offset:5616
	v_lshlrev_b64 v[25:26], 4, v[25:26]
	v_add_nc_u32_e32 v27, 0x186, v62
	v_add_co_u32 v21, vcc_lo, v1, v21
	v_add_co_ci_u32_e32 v22, vcc_lo, v2, v22, vcc_lo
	v_add_co_u32 v23, vcc_lo, v1, v23
	v_add_co_ci_u32_e32 v24, vcc_lo, v2, v24, vcc_lo
	;; [unrolled: 2-line block ×3, first 2 shown]
	s_waitcnt lgkmcnt(3)
	global_store_b128 v[19:20], v[3:6], off
	s_waitcnt lgkmcnt(2)
	global_store_b128 v[21:22], v[7:10], off
	s_waitcnt lgkmcnt(1)
	global_store_b128 v[23:24], v[11:14], off
	s_waitcnt lgkmcnt(0)
	global_store_b128 v[25:26], v[15:18], off
	v_mov_b32_e32 v12, v63
	v_lshlrev_b64 v[3:4], 4, v[27:28]
	v_dual_mov_b32 v14, v63 :: v_dual_add_nc_u32 v11, 0x1ad, v62
	v_dual_mov_b32 v26, v63 :: v_dual_add_nc_u32 v13, 0x1d4, v62
	v_add_nc_u32_e32 v25, 0x1fb, v62
	s_delay_alu instid0(VALU_DEP_4)
	v_add_co_u32 v19, vcc_lo, v1, v3
	v_add_co_ci_u32_e32 v20, vcc_lo, v2, v4, vcc_lo
	ds_load_b128 v[3:6], v0 offset:6240
	ds_load_b128 v[7:10], v0 offset:6864
	v_lshlrev_b64 v[21:22], 4, v[11:12]
	v_lshlrev_b64 v[23:24], 4, v[13:14]
	ds_load_b128 v[11:14], v0 offset:7488
	ds_load_b128 v[15:18], v0 offset:8112
	v_lshlrev_b64 v[25:26], 4, v[25:26]
	v_add_co_u32 v21, vcc_lo, v1, v21
	v_add_co_ci_u32_e32 v22, vcc_lo, v2, v22, vcc_lo
	v_add_co_u32 v23, vcc_lo, v1, v23
	v_add_co_ci_u32_e32 v24, vcc_lo, v2, v24, vcc_lo
	;; [unrolled: 2-line block ×3, first 2 shown]
	v_cmp_eq_u32_e32 vcc_lo, 38, v62
	s_waitcnt lgkmcnt(3)
	global_store_b128 v[19:20], v[3:6], off
	s_waitcnt lgkmcnt(2)
	global_store_b128 v[21:22], v[7:10], off
	;; [unrolled: 2-line block ×4, first 2 shown]
	s_and_b32 exec_lo, exec_lo, vcc_lo
	s_cbranch_execz .LBB0_25
; %bb.24:
	ds_load_b128 v[3:6], v0 offset:8128
	v_add_co_u32 v0, vcc_lo, 0x2000, v1
	v_add_co_ci_u32_e32 v1, vcc_lo, 0, v2, vcc_lo
	s_waitcnt lgkmcnt(0)
	global_store_b128 v[0:1], v[3:6], off offset:544
.LBB0_25:
	s_nop 0
	s_sendmsg sendmsg(MSG_DEALLOC_VGPRS)
	s_endpgm
	.section	.rodata,"a",@progbits
	.p2align	6, 0x0
	.amdhsa_kernel fft_rtc_back_len546_factors_13_3_7_2_wgs_117_tpt_39_halfLds_dp_op_CI_CI_unitstride_sbrr_R2C_dirReg
		.amdhsa_group_segment_fixed_size 0
		.amdhsa_private_segment_fixed_size 20
		.amdhsa_kernarg_size 104
		.amdhsa_user_sgpr_count 15
		.amdhsa_user_sgpr_dispatch_ptr 0
		.amdhsa_user_sgpr_queue_ptr 0
		.amdhsa_user_sgpr_kernarg_segment_ptr 1
		.amdhsa_user_sgpr_dispatch_id 0
		.amdhsa_user_sgpr_private_segment_size 0
		.amdhsa_wavefront_size32 1
		.amdhsa_uses_dynamic_stack 0
		.amdhsa_enable_private_segment 1
		.amdhsa_system_sgpr_workgroup_id_x 1
		.amdhsa_system_sgpr_workgroup_id_y 0
		.amdhsa_system_sgpr_workgroup_id_z 0
		.amdhsa_system_sgpr_workgroup_info 0
		.amdhsa_system_vgpr_workitem_id 0
		.amdhsa_next_free_vgpr 256
		.amdhsa_next_free_sgpr 44
		.amdhsa_reserve_vcc 1
		.amdhsa_float_round_mode_32 0
		.amdhsa_float_round_mode_16_64 0
		.amdhsa_float_denorm_mode_32 3
		.amdhsa_float_denorm_mode_16_64 3
		.amdhsa_dx10_clamp 1
		.amdhsa_ieee_mode 1
		.amdhsa_fp16_overflow 0
		.amdhsa_workgroup_processor_mode 1
		.amdhsa_memory_ordered 1
		.amdhsa_forward_progress 0
		.amdhsa_shared_vgpr_count 0
		.amdhsa_exception_fp_ieee_invalid_op 0
		.amdhsa_exception_fp_denorm_src 0
		.amdhsa_exception_fp_ieee_div_zero 0
		.amdhsa_exception_fp_ieee_overflow 0
		.amdhsa_exception_fp_ieee_underflow 0
		.amdhsa_exception_fp_ieee_inexact 0
		.amdhsa_exception_int_div_zero 0
	.end_amdhsa_kernel
	.text
.Lfunc_end0:
	.size	fft_rtc_back_len546_factors_13_3_7_2_wgs_117_tpt_39_halfLds_dp_op_CI_CI_unitstride_sbrr_R2C_dirReg, .Lfunc_end0-fft_rtc_back_len546_factors_13_3_7_2_wgs_117_tpt_39_halfLds_dp_op_CI_CI_unitstride_sbrr_R2C_dirReg
                                        ; -- End function
	.section	.AMDGPU.csdata,"",@progbits
; Kernel info:
; codeLenInByte = 17060
; NumSgprs: 46
; NumVgprs: 256
; ScratchSize: 20
; MemoryBound: 0
; FloatMode: 240
; IeeeMode: 1
; LDSByteSize: 0 bytes/workgroup (compile time only)
; SGPRBlocks: 5
; VGPRBlocks: 31
; NumSGPRsForWavesPerEU: 46
; NumVGPRsForWavesPerEU: 256
; Occupancy: 5
; WaveLimiterHint : 1
; COMPUTE_PGM_RSRC2:SCRATCH_EN: 1
; COMPUTE_PGM_RSRC2:USER_SGPR: 15
; COMPUTE_PGM_RSRC2:TRAP_HANDLER: 0
; COMPUTE_PGM_RSRC2:TGID_X_EN: 1
; COMPUTE_PGM_RSRC2:TGID_Y_EN: 0
; COMPUTE_PGM_RSRC2:TGID_Z_EN: 0
; COMPUTE_PGM_RSRC2:TIDIG_COMP_CNT: 0
	.text
	.p2alignl 7, 3214868480
	.fill 96, 4, 3214868480
	.type	__hip_cuid_d70d2ece3e36d564,@object ; @__hip_cuid_d70d2ece3e36d564
	.section	.bss,"aw",@nobits
	.globl	__hip_cuid_d70d2ece3e36d564
__hip_cuid_d70d2ece3e36d564:
	.byte	0                               ; 0x0
	.size	__hip_cuid_d70d2ece3e36d564, 1

	.ident	"AMD clang version 19.0.0git (https://github.com/RadeonOpenCompute/llvm-project roc-6.4.0 25133 c7fe45cf4b819c5991fe208aaa96edf142730f1d)"
	.section	".note.GNU-stack","",@progbits
	.addrsig
	.addrsig_sym __hip_cuid_d70d2ece3e36d564
	.amdgpu_metadata
---
amdhsa.kernels:
  - .args:
      - .actual_access:  read_only
        .address_space:  global
        .offset:         0
        .size:           8
        .value_kind:     global_buffer
      - .offset:         8
        .size:           8
        .value_kind:     by_value
      - .actual_access:  read_only
        .address_space:  global
        .offset:         16
        .size:           8
        .value_kind:     global_buffer
      - .actual_access:  read_only
        .address_space:  global
        .offset:         24
        .size:           8
        .value_kind:     global_buffer
      - .actual_access:  read_only
        .address_space:  global
        .offset:         32
        .size:           8
        .value_kind:     global_buffer
      - .offset:         40
        .size:           8
        .value_kind:     by_value
      - .actual_access:  read_only
        .address_space:  global
        .offset:         48
        .size:           8
        .value_kind:     global_buffer
      - .actual_access:  read_only
        .address_space:  global
        .offset:         56
        .size:           8
        .value_kind:     global_buffer
      - .offset:         64
        .size:           4
        .value_kind:     by_value
      - .actual_access:  read_only
        .address_space:  global
        .offset:         72
        .size:           8
        .value_kind:     global_buffer
      - .actual_access:  read_only
        .address_space:  global
        .offset:         80
        .size:           8
        .value_kind:     global_buffer
      - .actual_access:  read_only
        .address_space:  global
        .offset:         88
        .size:           8
        .value_kind:     global_buffer
      - .actual_access:  write_only
        .address_space:  global
        .offset:         96
        .size:           8
        .value_kind:     global_buffer
    .group_segment_fixed_size: 0
    .kernarg_segment_align: 8
    .kernarg_segment_size: 104
    .language:       OpenCL C
    .language_version:
      - 2
      - 0
    .max_flat_workgroup_size: 117
    .name:           fft_rtc_back_len546_factors_13_3_7_2_wgs_117_tpt_39_halfLds_dp_op_CI_CI_unitstride_sbrr_R2C_dirReg
    .private_segment_fixed_size: 20
    .sgpr_count:     46
    .sgpr_spill_count: 0
    .symbol:         fft_rtc_back_len546_factors_13_3_7_2_wgs_117_tpt_39_halfLds_dp_op_CI_CI_unitstride_sbrr_R2C_dirReg.kd
    .uniform_work_group_size: 1
    .uses_dynamic_stack: false
    .vgpr_count:     256
    .vgpr_spill_count: 8
    .wavefront_size: 32
    .workgroup_processor_mode: 1
amdhsa.target:   amdgcn-amd-amdhsa--gfx1100
amdhsa.version:
  - 1
  - 2
...

	.end_amdgpu_metadata
